;; amdgpu-corpus repo=ROCm/rocSOLVER kind=compiled arch=gfx1250 opt=O3
	.amdgcn_target "amdgcn-amd-amdhsa--gfx1250"
	.amdhsa_code_object_version 6
	.section	.text._ZN9rocsolver6v33100L10reset_infoIiiiEEvPT_T0_T1_S4_,"axG",@progbits,_ZN9rocsolver6v33100L10reset_infoIiiiEEvPT_T0_T1_S4_,comdat
	.globl	_ZN9rocsolver6v33100L10reset_infoIiiiEEvPT_T0_T1_S4_ ; -- Begin function _ZN9rocsolver6v33100L10reset_infoIiiiEEvPT_T0_T1_S4_
	.p2align	8
	.type	_ZN9rocsolver6v33100L10reset_infoIiiiEEvPT_T0_T1_S4_,@function
_ZN9rocsolver6v33100L10reset_infoIiiiEEvPT_T0_T1_S4_: ; @_ZN9rocsolver6v33100L10reset_infoIiiiEEvPT_T0_T1_S4_
; %bb.0:
	s_clause 0x1
	s_load_b32 s2, s[0:1], 0x24
	s_load_b96 s[4:6], s[0:1], 0x8
	s_bfe_u32 s3, ttmp6, 0x4000c
	s_and_b32 s7, ttmp6, 15
	s_add_co_i32 s3, s3, 1
	s_getreg_b32 s8, hwreg(HW_REG_IB_STS2, 6, 4)
	s_mul_i32 s3, ttmp9, s3
	s_delay_alu instid0(SALU_CYCLE_1) | instskip(SKIP_4) | instid1(SALU_CYCLE_1)
	s_add_co_i32 s7, s7, s3
	s_wait_kmcnt 0x0
	s_and_b32 s2, s2, 0xffff
	s_cmp_eq_u32 s8, 0
	s_cselect_b32 s3, ttmp9, s7
	v_mad_u32 v0, s3, s2, v0
	s_mov_b32 s2, exec_lo
	s_delay_alu instid0(VALU_DEP_1)
	v_cmpx_gt_i32_e64 s4, v0
	s_cbranch_execz .LBB0_2
; %bb.1:
	s_load_b64 s[0:1], s[0:1], 0x0
	v_mad_u32 v1, v0, s6, s5
	s_wait_kmcnt 0x0
	global_store_b32 v0, v1, s[0:1] scale_offset
.LBB0_2:
	s_endpgm
	.section	.rodata,"a",@progbits
	.p2align	6, 0x0
	.amdhsa_kernel _ZN9rocsolver6v33100L10reset_infoIiiiEEvPT_T0_T1_S4_
		.amdhsa_group_segment_fixed_size 0
		.amdhsa_private_segment_fixed_size 0
		.amdhsa_kernarg_size 280
		.amdhsa_user_sgpr_count 2
		.amdhsa_user_sgpr_dispatch_ptr 0
		.amdhsa_user_sgpr_queue_ptr 0
		.amdhsa_user_sgpr_kernarg_segment_ptr 1
		.amdhsa_user_sgpr_dispatch_id 0
		.amdhsa_user_sgpr_kernarg_preload_length 0
		.amdhsa_user_sgpr_kernarg_preload_offset 0
		.amdhsa_user_sgpr_private_segment_size 0
		.amdhsa_wavefront_size32 1
		.amdhsa_uses_dynamic_stack 0
		.amdhsa_enable_private_segment 0
		.amdhsa_system_sgpr_workgroup_id_x 1
		.amdhsa_system_sgpr_workgroup_id_y 0
		.amdhsa_system_sgpr_workgroup_id_z 0
		.amdhsa_system_sgpr_workgroup_info 0
		.amdhsa_system_vgpr_workitem_id 0
		.amdhsa_next_free_vgpr 2
		.amdhsa_next_free_sgpr 9
		.amdhsa_named_barrier_count 0
		.amdhsa_reserve_vcc 0
		.amdhsa_float_round_mode_32 0
		.amdhsa_float_round_mode_16_64 0
		.amdhsa_float_denorm_mode_32 3
		.amdhsa_float_denorm_mode_16_64 3
		.amdhsa_fp16_overflow 0
		.amdhsa_memory_ordered 1
		.amdhsa_forward_progress 1
		.amdhsa_inst_pref_size 2
		.amdhsa_round_robin_scheduling 0
		.amdhsa_exception_fp_ieee_invalid_op 0
		.amdhsa_exception_fp_denorm_src 0
		.amdhsa_exception_fp_ieee_div_zero 0
		.amdhsa_exception_fp_ieee_overflow 0
		.amdhsa_exception_fp_ieee_underflow 0
		.amdhsa_exception_fp_ieee_inexact 0
		.amdhsa_exception_int_div_zero 0
	.end_amdhsa_kernel
	.section	.text._ZN9rocsolver6v33100L10reset_infoIiiiEEvPT_T0_T1_S4_,"axG",@progbits,_ZN9rocsolver6v33100L10reset_infoIiiiEEvPT_T0_T1_S4_,comdat
.Lfunc_end0:
	.size	_ZN9rocsolver6v33100L10reset_infoIiiiEEvPT_T0_T1_S4_, .Lfunc_end0-_ZN9rocsolver6v33100L10reset_infoIiiiEEvPT_T0_T1_S4_
                                        ; -- End function
	.set _ZN9rocsolver6v33100L10reset_infoIiiiEEvPT_T0_T1_S4_.num_vgpr, 2
	.set _ZN9rocsolver6v33100L10reset_infoIiiiEEvPT_T0_T1_S4_.num_agpr, 0
	.set _ZN9rocsolver6v33100L10reset_infoIiiiEEvPT_T0_T1_S4_.numbered_sgpr, 9
	.set _ZN9rocsolver6v33100L10reset_infoIiiiEEvPT_T0_T1_S4_.num_named_barrier, 0
	.set _ZN9rocsolver6v33100L10reset_infoIiiiEEvPT_T0_T1_S4_.private_seg_size, 0
	.set _ZN9rocsolver6v33100L10reset_infoIiiiEEvPT_T0_T1_S4_.uses_vcc, 0
	.set _ZN9rocsolver6v33100L10reset_infoIiiiEEvPT_T0_T1_S4_.uses_flat_scratch, 0
	.set _ZN9rocsolver6v33100L10reset_infoIiiiEEvPT_T0_T1_S4_.has_dyn_sized_stack, 0
	.set _ZN9rocsolver6v33100L10reset_infoIiiiEEvPT_T0_T1_S4_.has_recursion, 0
	.set _ZN9rocsolver6v33100L10reset_infoIiiiEEvPT_T0_T1_S4_.has_indirect_call, 0
	.section	.AMDGPU.csdata,"",@progbits
; Kernel info:
; codeLenInByte = 136
; TotalNumSgprs: 9
; NumVgprs: 2
; ScratchSize: 0
; MemoryBound: 0
; FloatMode: 240
; IeeeMode: 1
; LDSByteSize: 0 bytes/workgroup (compile time only)
; SGPRBlocks: 0
; VGPRBlocks: 0
; NumSGPRsForWavesPerEU: 9
; NumVGPRsForWavesPerEU: 2
; NamedBarCnt: 0
; Occupancy: 16
; WaveLimiterHint : 0
; COMPUTE_PGM_RSRC2:SCRATCH_EN: 0
; COMPUTE_PGM_RSRC2:USER_SGPR: 2
; COMPUTE_PGM_RSRC2:TRAP_HANDLER: 0
; COMPUTE_PGM_RSRC2:TGID_X_EN: 1
; COMPUTE_PGM_RSRC2:TGID_Y_EN: 0
; COMPUTE_PGM_RSRC2:TGID_Z_EN: 0
; COMPUTE_PGM_RSRC2:TIDIG_COMP_CNT: 0
	.section	.text._ZN9rocsolver6v33100L18stebz_case1_kernelIfPfEEv15rocblas_erange_T_S4_T0_ilPiS6_PS4_lS6_lS6_li,"axG",@progbits,_ZN9rocsolver6v33100L18stebz_case1_kernelIfPfEEv15rocblas_erange_T_S4_T0_ilPiS6_PS4_lS6_lS6_li,comdat
	.globl	_ZN9rocsolver6v33100L18stebz_case1_kernelIfPfEEv15rocblas_erange_T_S4_T0_ilPiS6_PS4_lS6_lS6_li ; -- Begin function _ZN9rocsolver6v33100L18stebz_case1_kernelIfPfEEv15rocblas_erange_T_S4_T0_ilPiS6_PS4_lS6_lS6_li
	.p2align	8
	.type	_ZN9rocsolver6v33100L18stebz_case1_kernelIfPfEEv15rocblas_erange_T_S4_T0_ilPiS6_PS4_lS6_lS6_li,@function
_ZN9rocsolver6v33100L18stebz_case1_kernelIfPfEEv15rocblas_erange_T_S4_T0_ilPiS6_PS4_lS6_lS6_li: ; @_ZN9rocsolver6v33100L18stebz_case1_kernelIfPfEEv15rocblas_erange_T_S4_T0_ilPiS6_PS4_lS6_lS6_li
; %bb.0:
	s_clause 0x1
	s_load_b32 s2, s[0:1], 0x7c
	s_load_b32 s3, s[0:1], 0x68
	s_bfe_u32 s4, ttmp6, 0x4000c
	s_and_b32 s5, ttmp6, 15
	s_add_co_i32 s4, s4, 1
	s_getreg_b32 s6, hwreg(HW_REG_IB_STS2, 6, 4)
	s_mul_i32 s4, ttmp9, s4
	s_delay_alu instid0(SALU_CYCLE_1) | instskip(SKIP_4) | instid1(SALU_CYCLE_1)
	s_add_co_i32 s5, s5, s4
	s_wait_kmcnt 0x0
	s_and_b32 s2, s2, 0xffff
	s_cmp_eq_u32 s6, 0
	s_cselect_b32 s4, ttmp9, s5
	v_mad_u32 v0, s4, s2, v0
	s_delay_alu instid0(VALU_DEP_1)
	v_cmp_gt_i32_e32 vcc_lo, s3, v0
	s_mov_b32 s3, 0
	s_and_saveexec_b32 s2, vcc_lo
	s_cbranch_execz .LBB1_5
; %bb.1:
	s_load_b512 s[4:19], s[0:1], 0x20
	v_dual_ashrrev_i32 v1, 31, v0 :: v_dual_mov_b32 v5, 1
	s_load_b96 s[20:22], s[0:1], 0x10
	s_wait_kmcnt 0x0
	s_delay_alu instid0(VALU_DEP_1) | instskip(SKIP_4) | instid1(VALU_DEP_1)
	v_mul_u64_e32 v[2:3], s[4:5], v[0:1]
	global_store_b32 v0, v5, s[8:9] scale_offset
	s_ashr_i32 s5, s22, 31
	s_mov_b32 s4, s22
	v_lshl_add_u64 v[2:3], v[2:3], 2, s[20:21]
	v_lshl_add_u64 v[2:3], s[4:5], 2, v[2:3]
	s_load_b64 s[4:5], s[0:1], 0x60
	global_load_b32 v4, v[2:3], off
	s_load_b96 s[0:2], s[0:1], 0x0
	s_wait_kmcnt 0x0
	v_mul_u64_e32 v[2:3], s[4:5], v[0:1]
	s_cmp_lg_u32 s0, 0xe8
	s_cselect_b32 s4, -1, 0
	s_delay_alu instid0(SALU_CYCLE_1) | instskip(NEXT) | instid1(VALU_DEP_1)
	s_and_b32 vcc_lo, exec_lo, s4
	v_lshl_add_u64 v[2:3], v[2:3], 2, s[18:19]
	global_store_b32 v[2:3], v5, off
	s_cbranch_vccz .LBB1_6
; %bb.2:
	s_wait_xcnt 0x0
	v_lshl_add_u64 v[2:3], v[0:1], 2, s[6:7]
	s_and_saveexec_b32 s0, s4
	s_delay_alu instid0(SALU_CYCLE_1)
	s_xor_b32 s0, exec_lo, s0
	s_cbranch_execnz .LBB1_7
.LBB1_3:
	s_or_b32 exec_lo, exec_lo, s0
	s_delay_alu instid0(SALU_CYCLE_1)
	s_and_b32 exec_lo, exec_lo, s3
	s_cbranch_execz .LBB1_5
.LBB1_4:
	v_mov_b32_e32 v0, 0
	global_store_b32 v[2:3], v0, off
.LBB1_5:
	s_endpgm
.LBB1_6:
	s_wait_loadcnt 0x0
	v_cmp_nge_f32_e32 vcc_lo, s1, v4
	v_cmp_nlt_f32_e64 s0, s2, v4
	s_and_not1_b32 s1, s4, exec_lo
	s_mov_b32 s3, -1
	s_and_b32 s0, vcc_lo, s0
	s_delay_alu instid0(SALU_CYCLE_1) | instskip(NEXT) | instid1(SALU_CYCLE_1)
	s_and_b32 s0, s0, exec_lo
	s_or_b32 s4, s1, s0
	s_wait_xcnt 0x0
	v_lshl_add_u64 v[2:3], v[0:1], 2, s[6:7]
	s_and_saveexec_b32 s0, s4
	s_delay_alu instid0(SALU_CYCLE_1)
	s_xor_b32 s0, exec_lo, s0
	s_cbranch_execz .LBB1_3
.LBB1_7:
	v_mul_u64_e32 v[6:7], s[12:13], v[0:1]
	v_mul_u64_e32 v[0:1], s[16:17], v[0:1]
	v_mov_b32_e32 v5, 1
	s_and_not1_b32 s3, s3, exec_lo
	s_delay_alu instid0(VALU_DEP_3) | instskip(NEXT) | instid1(VALU_DEP_3)
	v_lshl_add_u64 v[6:7], v[6:7], 2, s[10:11]
	v_lshl_add_u64 v[0:1], v[0:1], 2, s[14:15]
	global_store_b32 v[2:3], v5, off
	s_wait_loadcnt 0x0
	global_store_b32 v[6:7], v4, off
	global_store_b32 v[0:1], v5, off
	s_wait_xcnt 0x0
	s_or_b32 exec_lo, exec_lo, s0
	s_delay_alu instid0(SALU_CYCLE_1)
	s_and_b32 exec_lo, exec_lo, s3
	s_cbranch_execnz .LBB1_4
	s_branch .LBB1_5
	.section	.rodata,"a",@progbits
	.p2align	6, 0x0
	.amdhsa_kernel _ZN9rocsolver6v33100L18stebz_case1_kernelIfPfEEv15rocblas_erange_T_S4_T0_ilPiS6_PS4_lS6_lS6_li
		.amdhsa_group_segment_fixed_size 0
		.amdhsa_private_segment_fixed_size 0
		.amdhsa_kernarg_size 368
		.amdhsa_user_sgpr_count 2
		.amdhsa_user_sgpr_dispatch_ptr 0
		.amdhsa_user_sgpr_queue_ptr 0
		.amdhsa_user_sgpr_kernarg_segment_ptr 1
		.amdhsa_user_sgpr_dispatch_id 0
		.amdhsa_user_sgpr_kernarg_preload_length 0
		.amdhsa_user_sgpr_kernarg_preload_offset 0
		.amdhsa_user_sgpr_private_segment_size 0
		.amdhsa_wavefront_size32 1
		.amdhsa_uses_dynamic_stack 0
		.amdhsa_enable_private_segment 0
		.amdhsa_system_sgpr_workgroup_id_x 1
		.amdhsa_system_sgpr_workgroup_id_y 0
		.amdhsa_system_sgpr_workgroup_id_z 0
		.amdhsa_system_sgpr_workgroup_info 0
		.amdhsa_system_vgpr_workitem_id 0
		.amdhsa_next_free_vgpr 8
		.amdhsa_next_free_sgpr 23
		.amdhsa_named_barrier_count 0
		.amdhsa_reserve_vcc 1
		.amdhsa_float_round_mode_32 0
		.amdhsa_float_round_mode_16_64 0
		.amdhsa_float_denorm_mode_32 3
		.amdhsa_float_denorm_mode_16_64 3
		.amdhsa_fp16_overflow 0
		.amdhsa_memory_ordered 1
		.amdhsa_forward_progress 1
		.amdhsa_inst_pref_size 4
		.amdhsa_round_robin_scheduling 0
		.amdhsa_exception_fp_ieee_invalid_op 0
		.amdhsa_exception_fp_denorm_src 0
		.amdhsa_exception_fp_ieee_div_zero 0
		.amdhsa_exception_fp_ieee_overflow 0
		.amdhsa_exception_fp_ieee_underflow 0
		.amdhsa_exception_fp_ieee_inexact 0
		.amdhsa_exception_int_div_zero 0
	.end_amdhsa_kernel
	.section	.text._ZN9rocsolver6v33100L18stebz_case1_kernelIfPfEEv15rocblas_erange_T_S4_T0_ilPiS6_PS4_lS6_lS6_li,"axG",@progbits,_ZN9rocsolver6v33100L18stebz_case1_kernelIfPfEEv15rocblas_erange_T_S4_T0_ilPiS6_PS4_lS6_lS6_li,comdat
.Lfunc_end1:
	.size	_ZN9rocsolver6v33100L18stebz_case1_kernelIfPfEEv15rocblas_erange_T_S4_T0_ilPiS6_PS4_lS6_lS6_li, .Lfunc_end1-_ZN9rocsolver6v33100L18stebz_case1_kernelIfPfEEv15rocblas_erange_T_S4_T0_ilPiS6_PS4_lS6_lS6_li
                                        ; -- End function
	.set _ZN9rocsolver6v33100L18stebz_case1_kernelIfPfEEv15rocblas_erange_T_S4_T0_ilPiS6_PS4_lS6_lS6_li.num_vgpr, 8
	.set _ZN9rocsolver6v33100L18stebz_case1_kernelIfPfEEv15rocblas_erange_T_S4_T0_ilPiS6_PS4_lS6_lS6_li.num_agpr, 0
	.set _ZN9rocsolver6v33100L18stebz_case1_kernelIfPfEEv15rocblas_erange_T_S4_T0_ilPiS6_PS4_lS6_lS6_li.numbered_sgpr, 23
	.set _ZN9rocsolver6v33100L18stebz_case1_kernelIfPfEEv15rocblas_erange_T_S4_T0_ilPiS6_PS4_lS6_lS6_li.num_named_barrier, 0
	.set _ZN9rocsolver6v33100L18stebz_case1_kernelIfPfEEv15rocblas_erange_T_S4_T0_ilPiS6_PS4_lS6_lS6_li.private_seg_size, 0
	.set _ZN9rocsolver6v33100L18stebz_case1_kernelIfPfEEv15rocblas_erange_T_S4_T0_ilPiS6_PS4_lS6_lS6_li.uses_vcc, 1
	.set _ZN9rocsolver6v33100L18stebz_case1_kernelIfPfEEv15rocblas_erange_T_S4_T0_ilPiS6_PS4_lS6_lS6_li.uses_flat_scratch, 0
	.set _ZN9rocsolver6v33100L18stebz_case1_kernelIfPfEEv15rocblas_erange_T_S4_T0_ilPiS6_PS4_lS6_lS6_li.has_dyn_sized_stack, 0
	.set _ZN9rocsolver6v33100L18stebz_case1_kernelIfPfEEv15rocblas_erange_T_S4_T0_ilPiS6_PS4_lS6_lS6_li.has_recursion, 0
	.set _ZN9rocsolver6v33100L18stebz_case1_kernelIfPfEEv15rocblas_erange_T_S4_T0_ilPiS6_PS4_lS6_lS6_li.has_indirect_call, 0
	.section	.AMDGPU.csdata,"",@progbits
; Kernel info:
; codeLenInByte = 488
; TotalNumSgprs: 25
; NumVgprs: 8
; ScratchSize: 0
; MemoryBound: 0
; FloatMode: 240
; IeeeMode: 1
; LDSByteSize: 0 bytes/workgroup (compile time only)
; SGPRBlocks: 0
; VGPRBlocks: 0
; NumSGPRsForWavesPerEU: 25
; NumVGPRsForWavesPerEU: 8
; NamedBarCnt: 0
; Occupancy: 16
; WaveLimiterHint : 0
; COMPUTE_PGM_RSRC2:SCRATCH_EN: 0
; COMPUTE_PGM_RSRC2:USER_SGPR: 2
; COMPUTE_PGM_RSRC2:TRAP_HANDLER: 0
; COMPUTE_PGM_RSRC2:TGID_X_EN: 1
; COMPUTE_PGM_RSRC2:TGID_Y_EN: 0
; COMPUTE_PGM_RSRC2:TGID_Z_EN: 0
; COMPUTE_PGM_RSRC2:TIDIG_COMP_CNT: 0
	.section	.text._ZN9rocsolver6v33100L22stebz_splitting_kernelIfPfEEv15rocblas_erange_iT_S4_iiT0_iiS5_iiPiPS4_lS6_lS6_S7_S7_S7_S7_S6_S4_S4_,"axG",@progbits,_ZN9rocsolver6v33100L22stebz_splitting_kernelIfPfEEv15rocblas_erange_iT_S4_iiT0_iiS5_iiPiPS4_lS6_lS6_S7_S7_S7_S7_S6_S4_S4_,comdat
	.globl	_ZN9rocsolver6v33100L22stebz_splitting_kernelIfPfEEv15rocblas_erange_iT_S4_iiT0_iiS5_iiPiPS4_lS6_lS6_S7_S7_S7_S7_S6_S4_S4_ ; -- Begin function _ZN9rocsolver6v33100L22stebz_splitting_kernelIfPfEEv15rocblas_erange_iT_S4_iiT0_iiS5_iiPiPS4_lS6_lS6_S7_S7_S7_S7_S6_S4_S4_
	.p2align	8
	.type	_ZN9rocsolver6v33100L22stebz_splitting_kernelIfPfEEv15rocblas_erange_iT_S4_iiT0_iiS5_iiPiPS4_lS6_lS6_S7_S7_S7_S7_S6_S4_S4_,@function
_ZN9rocsolver6v33100L22stebz_splitting_kernelIfPfEEv15rocblas_erange_iT_S4_iiT0_iiS5_iiPiPS4_lS6_lS6_S7_S7_S7_S7_S6_S4_S4_: ; @_ZN9rocsolver6v33100L22stebz_splitting_kernelIfPfEEv15rocblas_erange_iT_S4_iiT0_iiS5_iiPiPS4_lS6_lS6_S7_S7_S7_S7_S6_S4_S4_
; %bb.0:
	s_clause 0x1
	s_load_b128 s[20:23], s[0:1], 0x0
	s_load_b64 s[30:31], s[0:1], 0x10
	s_bfe_u32 s2, ttmp6, 0x40010
	s_bfe_u32 s3, ttmp6, 0x40004
	s_add_co_i32 s2, s2, 1
	s_getreg_b32 s4, hwreg(HW_REG_IB_STS2, 6, 4)
	s_mul_i32 s2, ttmp7, s2
	v_dual_lshlrev_b32 v2, 2, v0 :: v_dual_mov_b32 v4, 0
	s_add_co_i32 s3, s3, s2
	s_cmp_eq_u32 s4, 0
	v_mov_b32_e32 v8, 0
	s_cselect_b32 s28, ttmp7, s3
	s_mov_b32 s6, -1
	s_wait_kmcnt 0x0
	s_add_co_i32 s33, s21, -1
	s_delay_alu instid0(SALU_CYCLE_1) | instskip(NEXT) | instid1(SALU_CYCLE_1)
	s_ashr_i32 s2, s33, 31
	s_lshr_b32 s2, s2, 24
	s_delay_alu instid0(SALU_CYCLE_1) | instskip(NEXT) | instid1(SALU_CYCLE_1)
	s_add_co_i32 s2, s33, s2
	s_and_b32 s3, s2, 0xffffff00
	s_ashr_i32 s2, s2, 8
	s_sub_co_i32 s3, s33, s3
	s_delay_alu instid0(SALU_CYCLE_1)
	v_cmp_gt_i32_e32 vcc_lo, s3, v0
	v_add_co_ci_u32_e64 v1, null, s2, 0, vcc_lo
	v_cmp_eq_u32_e64 s2, 0, v0
	v_cmp_ne_u32_e32 vcc_lo, 0, v0
	ds_store_b32 v2, v1
	s_wait_dscnt 0x0
	s_barrier_signal -1
	s_barrier_wait -1
	s_and_saveexec_b32 s4, vcc_lo
	s_cbranch_execz .LBB2_16
; %bb.1:
	v_dual_mov_b32 v8, 0 :: v_dual_mov_b32 v3, 0
	s_mov_b32 s5, exec_lo
	v_cmpx_lt_u32_e32 3, v0
	s_cbranch_execz .LBB2_11
; %bb.2:
	v_dual_mov_b32 v10, 0 :: v_dual_add_nc_u32 v3, -4, v0
	v_mov_b64_e32 v[6:7], 0
	v_mov_b64_e32 v[8:9], 0
	s_delay_alu instid0(VALU_DEP_3) | instskip(SKIP_1) | instid1(VALU_DEP_2)
	v_lshrrev_b32_e32 v5, 2, v3
	v_cmp_lt_u32_e64 s3, 27, v3
	v_add_nc_u32_e32 v3, 1, v5
	s_and_saveexec_b32 s6, s3
	s_cbranch_execz .LBB2_6
; %bb.3:
	s_delay_alu instid0(VALU_DEP_1)
	v_and_b32_e32 v5, 0x7ffffff8, v3
	v_dual_mov_b32 v9, 0 :: v_dual_mov_b32 v8, 0
	v_dual_mov_b32 v7, 0 :: v_dual_mov_b32 v6, 0
	s_mov_b32 s7, 0
	s_mov_b32 s8, 0
	;; [unrolled: 1-line block ×3, first 2 shown]
.LBB2_4:                                ; =>This Inner Loop Header: Depth=1
	v_mov_b32_e32 v30, s8
	s_add_co_i32 s9, s9, 32
	s_addk_co_i32 s8, 0x80
	ds_load_b128 v[10:13], v30
	ds_load_b128 v[14:17], v30 offset:16
	ds_load_b128 v[18:21], v30 offset:32
	;; [unrolled: 1-line block ×4, first 2 shown]
	v_add_nc_u32_e32 v5, -8, v5
	s_delay_alu instid0(VALU_DEP_1)
	v_cmp_eq_u32_e64 s3, 0, v5
	s_or_b32 s7, s3, s7
	s_wait_dscnt 0x4
	v_dual_add_nc_u32 v11, v11, v9 :: v_dual_add_nc_u32 v10, v10, v8
	v_dual_add_nc_u32 v13, v13, v7 :: v_dual_add_nc_u32 v12, v12, v6
	ds_load_b128 v[6:9], v30 offset:80
	s_wait_dscnt 0x4
	v_dual_add_nc_u32 v11, v15, v11 :: v_dual_add_nc_u32 v10, v14, v10
	v_dual_add_nc_u32 v17, v17, v13 :: v_dual_add_nc_u32 v16, v16, v12
	ds_load_b128 v[12:15], v30 offset:96
	;; [unrolled: 4-line block ×3, first 2 shown]
	s_wait_dscnt 0x4
	v_dual_add_nc_u32 v11, v23, v11 :: v_dual_add_nc_u32 v10, v22, v10
	v_dual_add_nc_u32 v21, v25, v21 :: v_dual_add_nc_u32 v20, v24, v20
	s_wait_dscnt 0x3
	s_delay_alu instid0(VALU_DEP_2) | instskip(NEXT) | instid1(VALU_DEP_2)
	v_dual_add_nc_u32 v11, v27, v11 :: v_dual_add_nc_u32 v10, v26, v10
	v_dual_add_nc_u32 v21, v29, v21 :: v_dual_add_nc_u32 v20, v28, v20
	s_wait_dscnt 0x2
	s_delay_alu instid0(VALU_DEP_2) | instskip(NEXT) | instid1(VALU_DEP_2)
	;; [unrolled: 4-line block ×3, first 2 shown]
	v_dual_mov_b32 v10, s9 :: v_dual_add_nc_u32 v7, v13, v7
	v_dual_add_nc_u32 v6, v12, v6 :: v_dual_add_nc_u32 v11, v15, v9
	s_wait_dscnt 0x0
	s_delay_alu instid0(VALU_DEP_2) | instskip(NEXT) | instid1(VALU_DEP_2)
	v_dual_add_nc_u32 v12, v14, v8 :: v_dual_add_nc_u32 v9, v17, v7
	v_dual_add_nc_u32 v8, v16, v6 :: v_dual_add_nc_u32 v7, v19, v11
	s_delay_alu instid0(VALU_DEP_2)
	v_add_nc_u32_e32 v6, v18, v12
	s_and_not1_b32 exec_lo, exec_lo, s7
	s_cbranch_execnz .LBB2_4
; %bb.5:
	s_or_b32 exec_lo, exec_lo, s7
.LBB2_6:
	s_delay_alu instid0(SALU_CYCLE_1) | instskip(NEXT) | instid1(VALU_DEP_1)
	s_or_b32 exec_lo, exec_lo, s6
	v_and_b32_e32 v3, 7, v3
	s_mov_b32 s7, 0
	s_mov_b32 s6, exec_lo
	s_delay_alu instid0(VALU_DEP_1)
	v_cmpx_ne_u32_e32 0, v3
	s_cbranch_execz .LBB2_10
; %bb.7:
	v_lshlrev_b32_e32 v5, 2, v10
.LBB2_8:                                ; =>This Inner Loop Header: Depth=1
	ds_load_b128 v[10:13], v5
	v_dual_add_nc_u32 v3, -1, v3 :: v_dual_add_nc_u32 v5, 16, v5
	s_delay_alu instid0(VALU_DEP_1)
	v_cmp_eq_u32_e64 s3, 0, v3
	s_or_b32 s7, s3, s7
	s_wait_dscnt 0x0
	v_dual_add_nc_u32 v9, v11, v9 :: v_dual_add_nc_u32 v8, v10, v8
	v_dual_add_nc_u32 v7, v13, v7 :: v_dual_add_nc_u32 v6, v12, v6
	s_and_not1_b32 exec_lo, exec_lo, s7
	s_cbranch_execnz .LBB2_8
; %bb.9:
	s_or_b32 exec_lo, exec_lo, s7
.LBB2_10:
	s_delay_alu instid0(SALU_CYCLE_1) | instskip(SKIP_2) | instid1(VALU_DEP_2)
	s_or_b32 exec_lo, exec_lo, s6
	v_and_b32_e32 v3, 0xfc, v0
	v_add_nc_u32_e32 v5, v7, v9
	v_cmp_ne_u32_e64 s3, v0, v3
	s_delay_alu instid0(VALU_DEP_2)
	v_add3_u32 v8, v6, v8, v5
	s_or_not1_b32 s6, s3, exec_lo
.LBB2_11:
	s_or_b32 exec_lo, exec_lo, s5
	s_and_saveexec_b32 s5, s6
	s_cbranch_execz .LBB2_15
; %bb.12:
	v_dual_sub_nc_u32 v5, v0, v3 :: v_dual_lshlrev_b32 v3, 2, v3
	s_mov_b32 s6, 0
.LBB2_13:                               ; =>This Inner Loop Header: Depth=1
	ds_load_b32 v6, v3
	v_dual_add_nc_u32 v5, -1, v5 :: v_dual_add_nc_u32 v3, 4, v3
	s_delay_alu instid0(VALU_DEP_1)
	v_cmp_eq_u32_e64 s3, 0, v5
	s_or_b32 s6, s3, s6
	s_wait_dscnt 0x0
	v_add_nc_u32_e32 v8, v6, v8
	s_and_not1_b32 exec_lo, exec_lo, s6
	s_cbranch_execnz .LBB2_13
; %bb.14:
	s_or_b32 exec_lo, exec_lo, s6
.LBB2_15:
	s_delay_alu instid0(SALU_CYCLE_1)
	s_or_b32 exec_lo, exec_lo, s5
.LBB2_16:
	s_delay_alu instid0(SALU_CYCLE_1)
	s_or_b32 exec_lo, exec_lo, s4
	s_clause 0x2
	s_load_b128 s[24:27], s[0:1], 0x18
	s_load_b512 s[4:19], s[0:1], 0x38
	s_load_b64 s[34:35], s[0:1], 0x90
	s_mul_i32 s38, s21, s28
	v_ashrrev_i32_e32 v9, 31, v8
	s_ashr_i32 s39, s38, 31
	s_ashr_i32 s29, s28, 31
	s_lshl_b64 s[40:41], s[38:39], 2
	s_mul_i32 s36, s33, s28
	s_delay_alu instid0(SALU_CYCLE_1)
	s_ashr_i32 s37, s36, 31
	s_wait_kmcnt 0x0
	s_ashr_i32 s43, s27, 31
	s_add_nc_u64 s[14:15], s[14:15], s[40:41]
	s_mov_b32 s42, s27
	v_lshl_add_u64 v[6:7], v[8:9], 2, s[14:15]
	s_ashr_i32 s39, s26, 31
	s_mov_b32 s38, s26
	s_mul_u64 s[26:27], s[42:43], s[28:29]
	s_mul_u64 s[14:15], s[8:9], s[28:29]
	s_mov_b32 s8, exec_lo
	v_cmpx_lt_i32_e32 0, v1
	s_cbranch_execz .LBB2_22
; %bb.17:
	s_load_b128 s[40:43], s[0:1], 0x28
	s_lshl_b64 s[44:45], s[26:27], 2
	s_lshl_b64 s[46:47], s[38:39], 2
	;; [unrolled: 1-line block ×4, first 2 shown]
	s_add_nc_u64 s[44:45], s[44:45], s[46:47]
	s_add_nc_u64 s[46:47], s[18:19], s[48:49]
	;; [unrolled: 1-line block ×3, first 2 shown]
	v_lshlrev_b64_e32 v[4:5], 2, v[8:9]
	s_add_nc_u64 s[44:45], s[24:25], s[44:45]
	s_mov_b32 s9, 0
	s_delay_alu instid0(VALU_DEP_1)
	v_add_nc_u64_e32 v[10:11], s[44:45], v[4:5]
	v_add_nc_u64_e32 v[12:13], s[46:47], v[4:5]
	;; [unrolled: 1-line block ×3, first 2 shown]
	s_wait_kmcnt 0x0
	s_ashr_i32 s53, s43, 31
	s_mov_b32 s52, s43
	s_ashr_i32 s51, s42, 31
	s_mov_b32 s50, s42
	s_mul_u64 s[42:43], s[28:29], s[52:53]
	s_lshl_b64 s[50:51], s[50:51], 2
	s_lshl_b64 s[42:43], s[42:43], 2
	s_delay_alu instid0(SALU_CYCLE_1) | instskip(NEXT) | instid1(SALU_CYCLE_1)
	s_add_nc_u64 s[42:43], s[42:43], s[50:51]
	s_add_nc_u64 s[40:41], s[40:41], s[42:43]
	s_delay_alu instid0(SALU_CYCLE_1)
	v_add_nc_u64_e32 v[14:15], s[40:41], v[4:5]
	v_mov_b32_e32 v4, 0
	s_branch .LBB2_19
.LBB2_18:                               ;   in Loop: Header=BB2_19 Depth=1
	s_wait_xcnt 0x0
	s_or_b32 exec_lo, exec_lo, s40
	v_dual_add_nc_u32 v1, -1, v1 :: v_dual_add_nc_u32 v8, 1, v8
	global_store_b32 v[12:13], v21, off
	global_store_b32 v[16:17], v19, off
	v_add_nc_u64_e32 v[14:15], 4, v[14:15]
	v_add_nc_u64_e32 v[10:11], 4, v[10:11]
	s_wait_xcnt 0x1
	v_add_nc_u64_e32 v[12:13], 4, v[12:13]
	v_cmp_eq_u32_e64 s3, 0, v1
	s_wait_xcnt 0x0
	v_add_nc_u64_e32 v[16:17], 4, v[16:17]
	s_or_b32 s9, s3, s9
	s_delay_alu instid0(SALU_CYCLE_1)
	s_and_not1_b32 exec_lo, exec_lo, s9
	s_cbranch_execz .LBB2_21
.LBB2_19:                               ; =>This Inner Loop Header: Depth=1
	global_load_b64 v[20:21], v[10:11], off
	global_load_b32 v19, v[14:15], off
	s_mov_b32 s40, exec_lo
	s_wait_loadcnt 0x1
	v_dual_mov_b32 v18, s34 :: v_dual_mul_f32 v3, v20, v21
	s_wait_loadcnt 0x0
	v_mov_b32_e32 v21, v19
	s_delay_alu instid0(VALU_DEP_2) | instskip(NEXT) | instid1(VALU_DEP_1)
	v_mul_f32_e64 v20, s34, |v3|
	v_pk_mul_f32 v[20:21], v[18:19], v[20:21]
	s_delay_alu instid0(VALU_DEP_1) | instskip(SKIP_1) | instid1(VALU_DEP_1)
	v_add_f32_e32 v3, s35, v20
	s_wait_xcnt 0x0
	v_cmpx_gt_f32_e32 v3, v21
	s_cbranch_execz .LBB2_18
; %bb.20:                               ;   in Loop: Header=BB2_19 Depth=1
	v_dual_ashrrev_i32 v5, 31, v4 :: v_dual_add_nc_u32 v3, 1, v4
	v_dual_mov_b32 v21, 0 :: v_dual_mov_b32 v19, 0
	s_delay_alu instid0(VALU_DEP_2) | instskip(NEXT) | instid1(VALU_DEP_3)
	v_lshl_add_u64 v[22:23], v[4:5], 2, v[6:7]
	v_mov_b32_e32 v4, v3
	global_store_b32 v[22:23], v8, off
	s_branch .LBB2_18
.LBB2_21:
	s_or_b32 exec_lo, exec_lo, s9
.LBB2_22:
	s_delay_alu instid0(SALU_CYCLE_1)
	s_or_b32 exec_lo, exec_lo, s8
	v_mov_b32_e32 v8, 0
	ds_store_b32 v2, v4
	s_wait_storecnt_dscnt 0x0
	s_barrier_signal -1
	s_barrier_wait -1
	s_and_saveexec_b32 s3, vcc_lo
	s_cbranch_execz .LBB2_38
; %bb.23:
	v_dual_mov_b32 v8, 0 :: v_dual_mov_b32 v1, 0
	s_mov_b32 s9, -1
	s_mov_b32 s8, exec_lo
	v_cmpx_lt_u32_e32 3, v0
	s_cbranch_execz .LBB2_33
; %bb.24:
	v_dual_add_nc_u32 v1, -4, v0 :: v_dual_mov_b32 v5, 0
	v_mov_b64_e32 v[8:9], 0
	v_mov_b64_e32 v[10:11], 0
	s_delay_alu instid0(VALU_DEP_3) | instskip(SKIP_1) | instid1(VALU_DEP_2)
	v_lshrrev_b32_e32 v3, 2, v1
	v_cmp_lt_u32_e32 vcc_lo, 27, v1
	v_add_nc_u32_e32 v1, 1, v3
	s_and_saveexec_b32 s9, vcc_lo
	s_cbranch_execz .LBB2_28
; %bb.25:
	s_delay_alu instid0(VALU_DEP_1)
	v_and_b32_e32 v3, 0x7ffffff8, v1
	v_dual_mov_b32 v11, 0 :: v_dual_mov_b32 v10, 0
	v_dual_mov_b32 v9, 0 :: v_dual_mov_b32 v8, 0
	s_mov_b32 s40, 0
	s_mov_b32 s41, 0
	;; [unrolled: 1-line block ×3, first 2 shown]
.LBB2_26:                               ; =>This Inner Loop Header: Depth=1
	v_mov_b32_e32 v5, s41
	s_add_co_i32 s42, s42, 32
	s_addk_co_i32 s41, 0x80
	ds_load_b128 v[12:15], v5
	ds_load_b128 v[16:19], v5 offset:16
	ds_load_b128 v[20:23], v5 offset:32
	;; [unrolled: 1-line block ×4, first 2 shown]
	v_add_nc_u32_e32 v3, -8, v3
	s_delay_alu instid0(VALU_DEP_1)
	v_cmp_eq_u32_e32 vcc_lo, 0, v3
	s_or_b32 s40, vcc_lo, s40
	s_wait_dscnt 0x4
	v_dual_add_nc_u32 v13, v13, v11 :: v_dual_add_nc_u32 v12, v12, v10
	v_dual_add_nc_u32 v15, v15, v9 :: v_dual_add_nc_u32 v14, v14, v8
	ds_load_b128 v[8:11], v5 offset:80
	s_wait_dscnt 0x4
	v_dual_add_nc_u32 v17, v17, v13 :: v_dual_add_nc_u32 v16, v16, v12
	v_dual_add_nc_u32 v19, v19, v15 :: v_dual_add_nc_u32 v18, v18, v14
	ds_load_b128 v[12:15], v5 offset:96
	;; [unrolled: 4-line block ×3, first 2 shown]
	s_wait_dscnt 0x4
	v_dual_add_nc_u32 v5, v25, v21 :: v_dual_add_nc_u32 v20, v24, v20
	v_dual_add_nc_u32 v21, v27, v23 :: v_dual_add_nc_u32 v22, v26, v22
	s_wait_dscnt 0x3
	s_delay_alu instid0(VALU_DEP_2) | instskip(NEXT) | instid1(VALU_DEP_2)
	v_dual_add_nc_u32 v5, v29, v5 :: v_dual_add_nc_u32 v20, v28, v20
	v_dual_add_nc_u32 v21, v31, v21 :: v_dual_add_nc_u32 v22, v30, v22
	s_wait_dscnt 0x2
	s_delay_alu instid0(VALU_DEP_2) | instskip(NEXT) | instid1(VALU_DEP_2)
	;; [unrolled: 4-line block ×3, first 2 shown]
	v_dual_mov_b32 v5, s42 :: v_dual_add_nc_u32 v9, v13, v9
	v_dual_add_nc_u32 v8, v12, v8 :: v_dual_add_nc_u32 v12, v15, v11
	s_wait_dscnt 0x0
	s_delay_alu instid0(VALU_DEP_2) | instskip(NEXT) | instid1(VALU_DEP_2)
	v_dual_add_nc_u32 v13, v14, v10 :: v_dual_add_nc_u32 v11, v17, v9
	v_add_nc_u32_e32 v10, v16, v8
	s_delay_alu instid0(VALU_DEP_2)
	v_dual_add_nc_u32 v9, v19, v12 :: v_dual_add_nc_u32 v8, v18, v13
	s_and_not1_b32 exec_lo, exec_lo, s40
	s_cbranch_execnz .LBB2_26
; %bb.27:
	s_or_b32 exec_lo, exec_lo, s40
.LBB2_28:
	s_delay_alu instid0(SALU_CYCLE_1) | instskip(NEXT) | instid1(VALU_DEP_1)
	s_or_b32 exec_lo, exec_lo, s9
	v_and_b32_e32 v1, 7, v1
	s_mov_b32 s40, 0
	s_mov_b32 s9, exec_lo
	s_delay_alu instid0(VALU_DEP_1)
	v_cmpx_ne_u32_e32 0, v1
	s_cbranch_execz .LBB2_32
; %bb.29:
	v_lshlrev_b32_e32 v3, 2, v5
.LBB2_30:                               ; =>This Inner Loop Header: Depth=1
	ds_load_b128 v[12:15], v3
	v_dual_add_nc_u32 v1, -1, v1 :: v_dual_add_nc_u32 v3, 16, v3
	s_delay_alu instid0(VALU_DEP_1)
	v_cmp_eq_u32_e32 vcc_lo, 0, v1
	s_or_b32 s40, vcc_lo, s40
	s_wait_dscnt 0x0
	v_dual_add_nc_u32 v11, v13, v11 :: v_dual_add_nc_u32 v10, v12, v10
	v_dual_add_nc_u32 v9, v15, v9 :: v_dual_add_nc_u32 v8, v14, v8
	s_and_not1_b32 exec_lo, exec_lo, s40
	s_cbranch_execnz .LBB2_30
; %bb.31:
	s_or_b32 exec_lo, exec_lo, s40
.LBB2_32:
	s_delay_alu instid0(SALU_CYCLE_1) | instskip(SKIP_2) | instid1(VALU_DEP_2)
	s_or_b32 exec_lo, exec_lo, s9
	v_and_b32_e32 v1, 0xfc, v0
	v_add_nc_u32_e32 v3, v9, v11
	v_cmp_ne_u32_e32 vcc_lo, v0, v1
	s_delay_alu instid0(VALU_DEP_2)
	v_add3_u32 v8, v8, v10, v3
	s_or_not1_b32 s9, vcc_lo, exec_lo
.LBB2_33:
	s_or_b32 exec_lo, exec_lo, s8
	s_and_saveexec_b32 s8, s9
	s_cbranch_execz .LBB2_37
; %bb.34:
	v_dual_sub_nc_u32 v3, v0, v1 :: v_dual_lshlrev_b32 v1, 2, v1
	s_mov_b32 s9, 0
.LBB2_35:                               ; =>This Inner Loop Header: Depth=1
	ds_load_b32 v5, v1
	v_dual_add_nc_u32 v3, -1, v3 :: v_dual_add_nc_u32 v1, 4, v1
	s_delay_alu instid0(VALU_DEP_1)
	v_cmp_eq_u32_e32 vcc_lo, 0, v3
	s_or_b32 s9, vcc_lo, s9
	s_wait_dscnt 0x0
	v_add_nc_u32_e32 v8, v5, v8
	s_and_not1_b32 exec_lo, exec_lo, s9
	s_cbranch_execnz .LBB2_35
; %bb.36:
	s_or_b32 exec_lo, exec_lo, s9
.LBB2_37:
	s_delay_alu instid0(SALU_CYCLE_1)
	s_or_b32 exec_lo, exec_lo, s8
.LBB2_38:
	s_delay_alu instid0(SALU_CYCLE_1)
	s_or_b32 exec_lo, exec_lo, s3
	s_mul_u64 s[8:9], s[12:13], s[28:29]
	s_mov_b32 s12, 0
	s_mov_b32 s3, exec_lo
	v_cmpx_lt_i32_e32 0, v4
	s_cbranch_execz .LBB2_41
; %bb.39:
	v_dual_ashrrev_i32 v9, 31, v8 :: v_dual_mov_b32 v1, v4
	s_lshl_b64 s[40:41], s[8:9], 2
	s_delay_alu instid0(SALU_CYCLE_1)
	s_add_nc_u64 s[40:41], s[10:11], s[40:41]
	s_delay_alu instid0(VALU_DEP_1) | instid1(SALU_CYCLE_1)
	v_lshl_add_u64 v[10:11], v[8:9], 2, s[40:41]
.LBB2_40:                               ; =>This Inner Loop Header: Depth=1
	global_load_b32 v3, v[6:7], off
	v_add_nc_u32_e32 v1, -1, v1
	s_wait_xcnt 0x0
	v_add_nc_u64_e32 v[6:7], 4, v[6:7]
	s_wait_loadcnt 0x0
	v_add_nc_u32_e32 v3, 1, v3
	v_cmp_eq_u32_e32 vcc_lo, 0, v1
	global_store_b32 v[10:11], v3, off
	s_wait_xcnt 0x0
	v_add_nc_u64_e32 v[10:11], 4, v[10:11]
	s_or_b32 s12, vcc_lo, s12
	s_delay_alu instid0(SALU_CYCLE_1)
	s_and_not1_b32 exec_lo, exec_lo, s12
	s_cbranch_execnz .LBB2_40
.LBB2_41:
	s_or_b32 exec_lo, exec_lo, s3
	v_cmp_eq_u32_e64 s3, 0xff, v0
	s_and_saveexec_b32 s12, s3
	s_cbranch_execz .LBB2_43
; %bb.42:
	v_dual_add_nc_u32 v1, v8, v4 :: v_dual_mov_b32 v3, 0
	v_mov_b32_e32 v4, s21
	s_lshl_b64 s[8:9], s[8:9], 2
	s_lshl_b64 s[40:41], s[28:29], 2
	s_delay_alu instid0(VALU_DEP_2)
	v_add_nc_u32_e32 v5, 1, v1
	s_add_nc_u64 s[8:9], s[10:11], s[8:9]
	s_add_nc_u64 s[4:5], s[4:5], s[40:41]
	global_store_b32 v1, v4, s[8:9] scale_offset
	global_store_b32 v3, v5, s[4:5]
.LBB2_43:
	s_wait_xcnt 0x0
	s_or_b32 exec_lo, exec_lo, s12
	v_mov_b32_e32 v3, 0
	v_bfrev_b32_e32 v1, -2
	s_mov_b32 s5, exec_lo
	s_wait_storecnt 0x0
	s_barrier_signal -1
	s_barrier_wait -1
	v_cmpx_gt_i32_e64 s33, v0
	s_cbranch_execz .LBB2_47
; %bb.44:
	v_dual_mov_b32 v3, 0 :: v_dual_mov_b32 v6, v0
	s_lshl_b64 s[8:9], s[36:37], 2
	v_bfrev_b32_e32 v1, -2
	s_add_nc_u64 s[8:9], s[18:19], s[8:9]
	s_delay_alu instid0(VALU_DEP_2) | instid1(SALU_CYCLE_1)
	v_add_nc_u64_e32 v[4:5], s[8:9], v[2:3]
	s_mov_b32 s8, 0
.LBB2_45:                               ; =>This Inner Loop Header: Depth=1
	global_load_b32 v7, v[4:5], off
	v_cmp_eq_u32_e32 vcc_lo, 0x7fffffff, v1
	v_add_nc_u32_e32 v8, 1, v6
	s_wait_xcnt 0x0
	v_add_nc_u64_e32 v[4:5], 0x400, v[4:5]
	s_wait_loadcnt 0x0
	v_cmp_lt_f32_e64 s9, v3, |v7|
	s_or_b32 vcc_lo, s9, vcc_lo
	v_dual_cndmask_b32 v1, v1, v8 :: v_dual_add_nc_u32 v6, 0x100, v6
	v_cndmask_b32_e64 v3, v3, |v7|, vcc_lo
	s_delay_alu instid0(VALU_DEP_2) | instskip(SKIP_1) | instid1(SALU_CYCLE_1)
	v_cmp_le_i32_e64 s4, s33, v6
	s_or_b32 s8, s4, s8
	s_and_not1_b32 exec_lo, exec_lo, s8
	s_cbranch_execnz .LBB2_45
; %bb.46:
	s_or_b32 exec_lo, exec_lo, s8
.LBB2_47:
	s_delay_alu instid0(SALU_CYCLE_1)
	s_or_b32 exec_lo, exec_lo, s5
	s_cmp_lt_i32 s21, 3
	ds_store_b32 v2, v3 offset:1024
	ds_store_b32 v2, v1
	s_wait_dscnt 0x0
	s_barrier_signal -1
	s_barrier_wait -1
	s_cbranch_scc1 .LBB2_84
; %bb.48:
	v_or_b32_e32 v4, 0x400, v2
	s_mov_b32 s5, exec_lo
	v_cmpx_gt_u32_e32 0x80, v0
	s_cbranch_execz .LBB2_54
; %bb.49:
	ds_load_b32 v5, v4 offset:512
	ds_load_b32 v6, v2 offset:512
	s_mov_b32 s9, exec_lo
	s_wait_dscnt 0x1
	v_cmp_lt_f32_e64 s8, v3, v5
	v_cmpx_nlt_f32_e32 v3, v5
	s_cbranch_execz .LBB2_51
; %bb.50:
	v_cmp_eq_f32_e32 vcc_lo, v3, v5
	s_wait_dscnt 0x0
	v_cmp_gt_i32_e64 s4, v1, v6
	s_and_not1_b32 s8, s8, exec_lo
	s_and_b32 s4, vcc_lo, s4
	s_delay_alu instid0(SALU_CYCLE_1) | instskip(NEXT) | instid1(SALU_CYCLE_1)
	s_and_b32 s4, s4, exec_lo
	s_or_b32 s8, s8, s4
.LBB2_51:
	s_or_b32 exec_lo, exec_lo, s9
	s_and_saveexec_b32 s4, s8
	s_cbranch_execz .LBB2_53
; %bb.52:
	s_wait_dscnt 0x0
	v_dual_mov_b32 v1, v6 :: v_dual_mov_b32 v3, v5
	ds_store_b32 v4, v5
	ds_store_b32 v2, v6
.LBB2_53:
	s_or_b32 exec_lo, exec_lo, s4
.LBB2_54:
	s_delay_alu instid0(SALU_CYCLE_1) | instskip(NEXT) | instid1(SALU_CYCLE_1)
	s_or_b32 exec_lo, exec_lo, s5
	s_mov_b32 s5, exec_lo
	s_wait_dscnt 0x0
	s_barrier_signal -1
	s_barrier_wait -1
	v_cmpx_gt_u32_e32 64, v0
	s_cbranch_execz .LBB2_60
; %bb.55:
	ds_load_b32 v5, v4 offset:256
	ds_load_b32 v6, v2 offset:256
	s_mov_b32 s9, exec_lo
	s_wait_dscnt 0x1
	v_cmp_lt_f32_e64 s8, v3, v5
	v_cmpx_nlt_f32_e32 v3, v5
	s_cbranch_execz .LBB2_57
; %bb.56:
	v_cmp_eq_f32_e32 vcc_lo, v3, v5
	s_wait_dscnt 0x0
	v_cmp_gt_i32_e64 s4, v1, v6
	s_and_not1_b32 s8, s8, exec_lo
	s_and_b32 s4, vcc_lo, s4
	s_delay_alu instid0(SALU_CYCLE_1) | instskip(NEXT) | instid1(SALU_CYCLE_1)
	s_and_b32 s4, s4, exec_lo
	s_or_b32 s8, s8, s4
.LBB2_57:
	s_or_b32 exec_lo, exec_lo, s9
	s_and_saveexec_b32 s4, s8
	s_cbranch_execz .LBB2_59
; %bb.58:
	s_wait_dscnt 0x0
	v_dual_mov_b32 v1, v6 :: v_dual_mov_b32 v3, v5
	ds_store_b32 v4, v5
	ds_store_b32 v2, v6
.LBB2_59:
	s_or_b32 exec_lo, exec_lo, s4
.LBB2_60:
	s_delay_alu instid0(SALU_CYCLE_1) | instskip(NEXT) | instid1(SALU_CYCLE_1)
	s_or_b32 exec_lo, exec_lo, s5
	s_mov_b32 s8, exec_lo
	s_wait_dscnt 0x0
	s_barrier_signal -1
	s_barrier_wait -1
	v_cmpx_gt_u32_e32 32, v0
	s_cbranch_execz .LBB2_83
; %bb.61:
	ds_load_b32 v5, v4 offset:128
	ds_load_b32 v6, v2 offset:128
	s_mov_b32 s9, exec_lo
	s_wait_dscnt 0x1
	v_cmp_lt_f32_e64 s5, v3, v5
	v_cmpx_nlt_f32_e32 v3, v5
	s_cbranch_execz .LBB2_63
; %bb.62:
	v_cmp_eq_f32_e32 vcc_lo, v3, v5
	s_wait_dscnt 0x0
	v_cmp_gt_i32_e64 s4, v1, v6
	s_and_not1_b32 s5, s5, exec_lo
	s_and_b32 s4, vcc_lo, s4
	s_delay_alu instid0(SALU_CYCLE_1) | instskip(NEXT) | instid1(SALU_CYCLE_1)
	s_and_b32 s4, s4, exec_lo
	s_or_b32 s5, s5, s4
.LBB2_63:
	s_or_b32 exec_lo, exec_lo, s9
	s_and_saveexec_b32 s4, s5
	s_cbranch_execz .LBB2_65
; %bb.64:
	s_wait_dscnt 0x0
	v_dual_mov_b32 v3, v5 :: v_dual_mov_b32 v1, v6
	ds_store_b32 v4, v5
	ds_store_b32 v2, v6
.LBB2_65:
	s_or_b32 exec_lo, exec_lo, s4
	ds_load_b32 v5, v4 offset:64
	s_wait_dscnt 0x1
	ds_load_b32 v6, v2 offset:64
	s_mov_b32 s9, exec_lo
	s_wait_dscnt 0x1
	v_cmp_lt_f32_e64 s5, v3, v5
	v_cmpx_nlt_f32_e32 v3, v5
	s_cbranch_execz .LBB2_67
; %bb.66:
	v_cmp_eq_f32_e32 vcc_lo, v3, v5
	s_wait_dscnt 0x0
	v_cmp_gt_i32_e64 s4, v1, v6
	s_and_not1_b32 s5, s5, exec_lo
	s_and_b32 s4, vcc_lo, s4
	s_delay_alu instid0(SALU_CYCLE_1) | instskip(NEXT) | instid1(SALU_CYCLE_1)
	s_and_b32 s4, s4, exec_lo
	s_or_b32 s5, s5, s4
.LBB2_67:
	s_or_b32 exec_lo, exec_lo, s9
	s_and_saveexec_b32 s4, s5
	s_cbranch_execz .LBB2_69
; %bb.68:
	s_wait_dscnt 0x0
	v_dual_mov_b32 v3, v5 :: v_dual_mov_b32 v1, v6
	ds_store_b32 v4, v5
	ds_store_b32 v2, v6
.LBB2_69:
	s_or_b32 exec_lo, exec_lo, s4
	ds_load_b32 v5, v4 offset:32
	s_wait_dscnt 0x1
	;; [unrolled: 28-line block ×5, first 2 shown]
	ds_load_b32 v6, v2 offset:4
	s_wait_dscnt 0x1
	v_cmp_eq_f32_e32 vcc_lo, v3, v5
	s_wait_dscnt 0x0
	v_cmp_gt_i32_e64 s4, v1, v6
	v_cmp_lt_f32_e64 s5, v3, v5
	s_and_b32 s4, vcc_lo, s4
	s_delay_alu instid0(SALU_CYCLE_1) | instskip(NEXT) | instid1(SALU_CYCLE_1)
	s_or_b32 s4, s5, s4
	s_and_b32 exec_lo, exec_lo, s4
	s_cbranch_execz .LBB2_83
; %bb.82:
	ds_store_b32 v4, v5
	ds_store_b32 v2, v6
.LBB2_83:
	s_or_b32 exec_lo, exec_lo, s8
.LBB2_84:
	v_dual_mov_b32 v1, 0 :: v_dual_mov_b32 v2, s23
	s_wait_dscnt 0x0
	s_barrier_signal -1
	s_barrier_wait -1
	ds_load_b32 v1, v1 offset:1024
	s_clause 0x1
	s_load_b128 s[8:11], s[0:1], 0x78
	s_load_b64 s[40:41], s[0:1], 0x88
	s_mov_b32 s13, -1
	s_wait_dscnt 0x0
	s_wait_xcnt 0x0
	v_readfirstlane_b32 s0, v1
	v_mov_b32_e32 v1, s22
	s_mul_f32 s0, s35, s0
	s_delay_alu instid0(SALU_CYCLE_3)
	s_cmp_lt_f32 s0, s35
	s_cselect_b32 s35, s35, s0
	s_cmp_lg_u32 s20, 0xe9
	s_cbranch_scc1 .LBB2_133
; %bb.85:
	s_lshl_b64 s[22:23], s[26:27], 2
	s_lshl_b32 s12, s21, 1
	s_lshl_b64 s[26:27], s[38:39], 2
	s_add_nc_u64 s[0:1], s[24:25], s[22:23]
	s_mul_i32 s4, s12, s28
	s_add_nc_u64 s[38:39], s[0:1], s[26:27]
	s_lshl_b64 s[0:1], s[36:37], 2
	s_ashr_i32 s5, s4, 31
	s_add_nc_u64 s[18:19], s[18:19], s[0:1]
	s_lshl_b64 s[0:1], s[14:15], 2
	s_lshl_b64 s[36:37], s[4:5], 2
	s_add_nc_u64 s[14:15], s[6:7], s[0:1]
	s_wait_kmcnt 0x0
	s_add_nc_u64 s[4:5], s[10:11], s[36:37]
	s_add_nc_u64 s[6:7], s[40:41], s[36:37]
	s_and_saveexec_b32 s1, s2
	s_cbranch_execz .LBB2_93
; %bb.86:
	v_mov_b32_e32 v5, 0
	s_cmp_gt_i32 s21, 1
	s_clause 0x1
	global_load_b32 v2, v5, s[14:15]
	global_load_b32 v1, v5, s[38:39]
	s_cselect_b32 s13, -1, 0
	s_cmp_lt_i32 s21, 2
	s_wait_loadcnt 0x1
	v_and_b32_e32 v3, 0x7fffffff, v2
	s_wait_loadcnt 0x0
	s_delay_alu instid0(VALU_DEP_1) | instskip(NEXT) | instid1(VALU_DEP_1)
	v_sub_f32_e32 v2, v1, v3
	v_sub_f32_e32 v6, v1, v2
	s_delay_alu instid0(VALU_DEP_1)
	v_cmp_ge_f32_e32 vcc_lo, s35, v6
	v_cndmask_b32_e64 v4, 0, 1, vcc_lo
	s_cbranch_scc1 .LBB2_89
; %bb.87:
	s_xor_b32 s42, s35, 0x80000000
	s_add_nc_u64 s[10:11], s[22:23], s[26:27]
	v_cmp_lt_f32_e64 s0, s42, v6
	s_add_nc_u64 s[10:11], s[24:25], s[10:11]
	s_mov_b64 s[36:37], s[18:19]
	s_add_nc_u64 s[10:11], s[10:11], 4
	s_mov_b32 s43, s33
	s_and_b32 s0, vcc_lo, s0
	s_delay_alu instid0(SALU_CYCLE_1)
	v_cndmask_b32_e64 v6, v6, s42, s0
.LBB2_88:                               ; =>This Inner Loop Header: Depth=1
	s_clause 0x1
	global_load_b32 v7, v5, s[36:37]
	global_load_b32 v8, v5, s[10:11]
	s_add_co_i32 s43, s43, -1
	s_wait_xcnt 0x0
	s_add_nc_u64 s[10:11], s[10:11], 4
	s_add_nc_u64 s[36:37], s[36:37], 4
	s_wait_loadcnt 0x1
	v_div_scale_f32 v9, null, v6, v6, v7
	v_div_scale_f32 v12, vcc_lo, v7, v6, v7
	s_wait_loadcnt 0x0
	v_sub_f32_e32 v8, v8, v2
	s_delay_alu instid0(VALU_DEP_3)
	v_rcp_f32_e32 v10, v9
	v_nop
	v_xor_b32_e32 v9, 0x80000000, v9
	s_delay_alu instid0(TRANS32_DEP_1) | instid1(VALU_DEP_1)
	v_fma_f32 v11, v9, v10, 1.0
	s_delay_alu instid0(VALU_DEP_1) | instskip(NEXT) | instid1(VALU_DEP_1)
	v_fmac_f32_e32 v10, v11, v10
	v_mul_f32_e32 v11, v12, v10
	s_delay_alu instid0(VALU_DEP_1) | instskip(NEXT) | instid1(VALU_DEP_1)
	v_fma_f32 v13, v9, v11, v12
	v_fmac_f32_e32 v11, v13, v10
	s_delay_alu instid0(VALU_DEP_1) | instskip(NEXT) | instid1(VALU_DEP_1)
	v_fmac_f32_e32 v12, v9, v11
	v_div_fmas_f32 v9, v12, v10, v11
	s_delay_alu instid0(VALU_DEP_1) | instskip(NEXT) | instid1(VALU_DEP_1)
	v_div_fixup_f32 v6, v9, v6, v7
	v_sub_f32_e32 v6, v8, v6
	s_delay_alu instid0(VALU_DEP_1)
	v_cmp_ge_f32_e32 vcc_lo, s35, v6
	v_cmp_lt_f32_e64 s0, s42, v6
	v_add_co_ci_u32_e64 v4, null, 0, v4, vcc_lo
	s_and_b32 s0, vcc_lo, s0
	s_cmp_lg_u32 s43, 0
	v_cndmask_b32_e64 v6, v6, s42, s0
	s_cbranch_scc1 .LBB2_88
.LBB2_89:
	v_add_f32_e32 v3, v1, v3
	s_and_not1_b32 vcc_lo, exec_lo, s13
	s_delay_alu instid0(VALU_DEP_1) | instskip(NEXT) | instid1(VALU_DEP_1)
	v_sub_f32_e32 v1, v1, v3
	v_cmp_ge_f32_e64 s0, s35, v1
	s_delay_alu instid0(VALU_DEP_1)
	v_cndmask_b32_e64 v5, 0, 1, s0
	s_cbranch_vccnz .LBB2_92
; %bb.90:
	s_xor_b32 s13, s35, 0x80000000
	s_add_nc_u64 s[10:11], s[22:23], s[26:27]
	v_cmp_lt_f32_e32 vcc_lo, s13, v1
	s_add_nc_u64 s[10:11], s[24:25], s[10:11]
	s_mov_b64 s[36:37], s[18:19]
	s_add_nc_u64 s[10:11], s[10:11], 4
	s_mov_b32 s42, s33
	s_and_b32 s0, s0, vcc_lo
	s_delay_alu instid0(SALU_CYCLE_1)
	v_cndmask_b32_e64 v6, v1, s13, s0
	v_mov_b32_e32 v1, 0
.LBB2_91:                               ; =>This Inner Loop Header: Depth=1
	s_clause 0x1
	global_load_b32 v7, v1, s[36:37]
	global_load_b32 v8, v1, s[10:11]
	s_add_co_i32 s42, s42, -1
	s_wait_xcnt 0x0
	s_add_nc_u64 s[10:11], s[10:11], 4
	s_add_nc_u64 s[36:37], s[36:37], 4
	s_wait_loadcnt 0x1
	v_div_scale_f32 v9, null, v6, v6, v7
	v_div_scale_f32 v12, vcc_lo, v7, v6, v7
	s_wait_loadcnt 0x0
	v_sub_f32_e32 v8, v8, v3
	s_delay_alu instid0(VALU_DEP_3)
	v_rcp_f32_e32 v10, v9
	v_nop
	v_xor_b32_e32 v9, 0x80000000, v9
	s_delay_alu instid0(TRANS32_DEP_1) | instid1(VALU_DEP_1)
	v_fma_f32 v11, v9, v10, 1.0
	s_delay_alu instid0(VALU_DEP_1) | instskip(NEXT) | instid1(VALU_DEP_1)
	v_fmac_f32_e32 v10, v11, v10
	v_mul_f32_e32 v11, v12, v10
	s_delay_alu instid0(VALU_DEP_1) | instskip(NEXT) | instid1(VALU_DEP_1)
	v_fma_f32 v13, v9, v11, v12
	v_fmac_f32_e32 v11, v13, v10
	s_delay_alu instid0(VALU_DEP_1) | instskip(NEXT) | instid1(VALU_DEP_1)
	v_fmac_f32_e32 v12, v9, v11
	v_div_fmas_f32 v9, v12, v10, v11
	s_delay_alu instid0(VALU_DEP_1) | instskip(NEXT) | instid1(VALU_DEP_1)
	v_div_fixup_f32 v6, v9, v6, v7
	v_sub_f32_e32 v6, v8, v6
	s_delay_alu instid0(VALU_DEP_1)
	v_cmp_ge_f32_e32 vcc_lo, s35, v6
	v_cmp_lt_f32_e64 s0, s13, v6
	v_add_co_ci_u32_e64 v5, null, 0, v5, vcc_lo
	s_and_b32 s0, vcc_lo, s0
	s_cmp_lg_u32 s42, 0
	v_cndmask_b32_e64 v6, v6, s13, s0
	s_cbranch_scc1 .LBB2_91
.LBB2_92:
	v_mov_b32_e32 v1, 0
	s_clause 0x1
	global_store_b64 v1, v[2:3], s[4:5]
	global_store_b64 v1, v[4:5], s[6:7]
.LBB2_93:
	s_wait_xcnt 0x0
	s_or_b32 exec_lo, exec_lo, s1
	v_add_nc_u32_e32 v0, 1, v0
	s_mov_b32 s13, exec_lo
	s_delay_alu instid0(VALU_DEP_1)
	v_cmpx_gt_i32_e64 s33, v0
	s_cbranch_execz .LBB2_100
; %bb.94:
	s_add_nc_u64 s[0:1], s[22:23], s[26:27]
	v_mov_b32_e32 v1, 0
	s_add_nc_u64 s[0:1], s[24:25], s[0:1]
	s_mov_b32 s42, 0
	s_add_nc_u64 s[0:1], s[0:1], 4
.LBB2_95:                               ; =>This Loop Header: Depth=1
                                        ;     Child Loop BB2_96 Depth 2
                                        ;     Child Loop BB2_98 Depth 2
	s_delay_alu instid0(VALU_DEP_1)
	v_lshl_add_u64 v[6:7], v[0:1], 2, s[14:15]
	s_mov_b32 s43, 1
	s_mov_b64 s[36:37], s[0:1]
	global_load_b64 v[8:9], v[6:7], off offset:-4
	s_clause 0x1
	global_load_b32 v3, v0, s[38:39] scale_offset
	global_load_b32 v5, v1, s[38:39]
	s_wait_loadcnt 0x2
	s_wait_xcnt 0x2
	v_add_f32_e64 v6, |v9|, |v8|
	s_wait_loadcnt 0x1
	s_delay_alu instid0(VALU_DEP_1) | instskip(SKIP_1) | instid1(VALU_DEP_1)
	v_sub_f32_e32 v2, v3, v6
	s_wait_loadcnt 0x0
	v_sub_f32_e32 v7, v5, v2
	s_delay_alu instid0(VALU_DEP_1)
	v_cmp_gt_f32_e64 s10, v7, -s35
	v_cmp_ge_f32_e32 vcc_lo, s35, v7
	s_and_b32 s10, vcc_lo, s10
	v_cndmask_b32_e64 v4, 0, 1, vcc_lo
	v_cndmask_b32_e64 v7, v7, -s35, s10
	s_mov_b64 s[10:11], s[18:19]
.LBB2_96:                               ;   Parent Loop BB2_95 Depth=1
                                        ; =>  This Inner Loop Header: Depth=2
	s_clause 0x1
	global_load_b32 v8, v1, s[10:11]
	global_load_b32 v9, v1, s[36:37]
	s_add_co_i32 s43, s43, 1
	s_wait_xcnt 0x0
	s_add_nc_u64 s[36:37], s[36:37], 4
	s_add_nc_u64 s[10:11], s[10:11], 4
	s_wait_loadcnt 0x1
	v_div_scale_f32 v10, null, v7, v7, v8
	v_div_scale_f32 v13, vcc_lo, v8, v7, v8
	s_wait_loadcnt 0x0
	v_sub_f32_e32 v9, v9, v2
	s_delay_alu instid0(VALU_DEP_3) | instskip(SKIP_1) | instid1(TRANS32_DEP_1)
	v_rcp_f32_e32 v11, v10
	v_nop
	v_fma_f32 v12, -v10, v11, 1.0
	s_delay_alu instid0(VALU_DEP_1) | instskip(NEXT) | instid1(VALU_DEP_1)
	v_fmac_f32_e32 v11, v12, v11
	v_mul_f32_e32 v12, v13, v11
	s_delay_alu instid0(VALU_DEP_1) | instskip(NEXT) | instid1(VALU_DEP_1)
	v_fma_f32 v14, -v10, v12, v13
	v_fmac_f32_e32 v12, v14, v11
	s_delay_alu instid0(VALU_DEP_1) | instskip(NEXT) | instid1(VALU_DEP_1)
	v_fma_f32 v10, -v10, v12, v13
	v_div_fmas_f32 v10, v10, v11, v12
	s_delay_alu instid0(VALU_DEP_1) | instskip(NEXT) | instid1(VALU_DEP_1)
	v_div_fixup_f32 v7, v10, v7, v8
	v_sub_f32_e32 v7, v9, v7
	s_delay_alu instid0(VALU_DEP_1)
	v_cmp_ge_f32_e32 vcc_lo, s35, v7
	v_cmp_gt_f32_e64 s44, v7, -s35
	v_add_co_ci_u32_e64 v4, null, 0, v4, vcc_lo
	s_and_b32 s44, vcc_lo, s44
	s_cmp_lg_u32 s21, s43
	v_cndmask_b32_e64 v7, v7, -s35, s44
	s_cbranch_scc1 .LBB2_96
; %bb.97:                               ;   in Loop: Header=BB2_95 Depth=1
	v_add_f32_e32 v3, v3, v6
	s_mov_b64 s[36:37], s[0:1]
	s_mov_b32 s43, s33
	s_delay_alu instid0(VALU_DEP_1) | instskip(NEXT) | instid1(VALU_DEP_1)
	v_sub_f32_e32 v6, v5, v3
	v_cmp_gt_f32_e64 s10, v6, -s35
	v_cmp_ge_f32_e32 vcc_lo, s35, v6
	s_and_b32 s10, vcc_lo, s10
	v_cndmask_b32_e64 v5, 0, 1, vcc_lo
	v_cndmask_b32_e64 v6, v6, -s35, s10
	s_mov_b64 s[10:11], s[18:19]
.LBB2_98:                               ;   Parent Loop BB2_95 Depth=1
                                        ; =>  This Inner Loop Header: Depth=2
	s_clause 0x1
	global_load_b32 v7, v1, s[10:11]
	global_load_b32 v8, v1, s[36:37]
	s_add_co_i32 s43, s43, -1
	s_wait_xcnt 0x0
	s_add_nc_u64 s[36:37], s[36:37], 4
	s_add_nc_u64 s[10:11], s[10:11], 4
	s_wait_loadcnt 0x1
	v_div_scale_f32 v9, null, v6, v6, v7
	v_div_scale_f32 v12, vcc_lo, v7, v6, v7
	s_wait_loadcnt 0x0
	v_sub_f32_e32 v8, v8, v3
	s_delay_alu instid0(VALU_DEP_3) | instskip(SKIP_1) | instid1(TRANS32_DEP_1)
	v_rcp_f32_e32 v10, v9
	v_nop
	v_fma_f32 v11, -v9, v10, 1.0
	s_delay_alu instid0(VALU_DEP_1) | instskip(NEXT) | instid1(VALU_DEP_1)
	v_fmac_f32_e32 v10, v11, v10
	v_mul_f32_e32 v11, v12, v10
	s_delay_alu instid0(VALU_DEP_1) | instskip(NEXT) | instid1(VALU_DEP_1)
	v_fma_f32 v13, -v9, v11, v12
	v_fmac_f32_e32 v11, v13, v10
	s_delay_alu instid0(VALU_DEP_1) | instskip(NEXT) | instid1(VALU_DEP_1)
	v_fma_f32 v9, -v9, v11, v12
	v_div_fmas_f32 v9, v9, v10, v11
	s_delay_alu instid0(VALU_DEP_1) | instskip(NEXT) | instid1(VALU_DEP_1)
	v_div_fixup_f32 v6, v9, v6, v7
	v_sub_f32_e32 v6, v8, v6
	s_delay_alu instid0(VALU_DEP_1)
	v_cmp_ge_f32_e32 vcc_lo, s35, v6
	v_cmp_gt_f32_e64 s44, v6, -s35
	v_add_co_ci_u32_e64 v5, null, 0, v5, vcc_lo
	s_and_b32 s44, vcc_lo, s44
	s_cmp_lg_u32 s43, 0
	v_cndmask_b32_e64 v6, v6, -s35, s44
	s_cbranch_scc1 .LBB2_98
; %bb.99:                               ;   in Loop: Header=BB2_95 Depth=1
	v_dual_mov_b32 v7, v1 :: v_dual_lshlrev_b32 v6, 1, v0
	v_add_nc_u32_e32 v0, 0x100, v0
	s_delay_alu instid0(VALU_DEP_2) | instskip(NEXT) | instid1(VALU_DEP_2)
	v_lshlrev_b64_e32 v[6:7], 2, v[6:7]
	v_cmp_le_i32_e32 vcc_lo, s33, v0
	s_or_b32 s42, vcc_lo, s42
	s_delay_alu instid0(VALU_DEP_2)
	v_add_nc_u64_e32 v[8:9], s[4:5], v[6:7]
	v_add_nc_u64_e32 v[6:7], s[6:7], v[6:7]
	global_store_b64 v[8:9], v[2:3], off
	global_store_b64 v[6:7], v[4:5], off
	s_wait_xcnt 0x0
	s_and_not1_b32 exec_lo, exec_lo, s42
	s_cbranch_execnz .LBB2_95
.LBB2_100:
	s_or_b32 exec_lo, exec_lo, s13
	s_and_saveexec_b32 s1, s3
	s_cbranch_execz .LBB2_108
; %bb.101:
	v_dual_mov_b32 v0, s21 :: v_dual_mov_b32 v5, 0
	s_cmp_gt_i32 s21, 1
	s_cselect_b32 s3, -1, 0
	s_clause 0x2
	global_load_b32 v2, v0, s[14:15] offset:-8 scale_offset
	global_load_b32 v1, v0, s[38:39] offset:-4 scale_offset
	global_load_b32 v3, v5, s[38:39]
	s_cmp_lt_i32 s21, 2
	s_wait_loadcnt 0x2
	v_and_b32_e32 v4, 0x7fffffff, v2
	s_wait_loadcnt 0x1
	s_wait_xcnt 0x1
	s_delay_alu instid0(VALU_DEP_1) | instskip(SKIP_1) | instid1(VALU_DEP_1)
	v_sub_f32_e32 v0, v1, v4
	s_wait_loadcnt 0x0
	v_sub_f32_e32 v6, v3, v0
	s_delay_alu instid0(VALU_DEP_1)
	v_cmp_ge_f32_e32 vcc_lo, s35, v6
	v_cndmask_b32_e64 v2, 0, 1, vcc_lo
	s_cbranch_scc1 .LBB2_104
; %bb.102:
	s_xor_b32 s13, s35, 0x80000000
	s_add_nc_u64 s[10:11], s[22:23], s[26:27]
	v_cmp_lt_f32_e64 s0, s13, v6
	s_add_nc_u64 s[10:11], s[24:25], s[10:11]
	s_mov_b64 s[14:15], s[18:19]
	s_add_nc_u64 s[10:11], s[10:11], 4
	s_mov_b32 s36, s33
	s_and_b32 s0, vcc_lo, s0
	s_delay_alu instid0(SALU_CYCLE_1)
	v_cndmask_b32_e64 v6, v6, s13, s0
.LBB2_103:                              ; =>This Inner Loop Header: Depth=1
	s_clause 0x1
	global_load_b32 v7, v5, s[14:15]
	global_load_b32 v8, v5, s[10:11]
	s_add_co_i32 s36, s36, -1
	s_wait_xcnt 0x0
	s_add_nc_u64 s[10:11], s[10:11], 4
	s_add_nc_u64 s[14:15], s[14:15], 4
	s_wait_loadcnt 0x1
	v_div_scale_f32 v9, null, v6, v6, v7
	v_div_scale_f32 v12, vcc_lo, v7, v6, v7
	s_wait_loadcnt 0x0
	v_sub_f32_e32 v8, v8, v0
	s_delay_alu instid0(VALU_DEP_3)
	v_rcp_f32_e32 v10, v9
	v_nop
	v_xor_b32_e32 v9, 0x80000000, v9
	s_delay_alu instid0(TRANS32_DEP_1) | instid1(VALU_DEP_1)
	v_fma_f32 v11, v9, v10, 1.0
	s_delay_alu instid0(VALU_DEP_1) | instskip(NEXT) | instid1(VALU_DEP_1)
	v_fmac_f32_e32 v10, v11, v10
	v_mul_f32_e32 v11, v12, v10
	s_delay_alu instid0(VALU_DEP_1) | instskip(NEXT) | instid1(VALU_DEP_1)
	v_fma_f32 v13, v9, v11, v12
	v_fmac_f32_e32 v11, v13, v10
	s_delay_alu instid0(VALU_DEP_1) | instskip(NEXT) | instid1(VALU_DEP_1)
	v_fmac_f32_e32 v12, v9, v11
	v_div_fmas_f32 v9, v12, v10, v11
	s_delay_alu instid0(VALU_DEP_1) | instskip(NEXT) | instid1(VALU_DEP_1)
	v_div_fixup_f32 v6, v9, v6, v7
	v_sub_f32_e32 v6, v8, v6
	s_delay_alu instid0(VALU_DEP_1)
	v_cmp_ge_f32_e32 vcc_lo, s35, v6
	v_cmp_lt_f32_e64 s0, s13, v6
	v_add_co_ci_u32_e64 v2, null, 0, v2, vcc_lo
	s_and_b32 s0, vcc_lo, s0
	s_cmp_lg_u32 s36, 0
	v_cndmask_b32_e64 v6, v6, s13, s0
	s_cbranch_scc1 .LBB2_103
.LBB2_104:
	v_add_f32_e32 v1, v1, v4
	s_and_not1_b32 vcc_lo, exec_lo, s3
	s_delay_alu instid0(VALU_DEP_1) | instskip(NEXT) | instid1(VALU_DEP_1)
	v_sub_f32_e32 v4, v3, v1
	v_cmp_ge_f32_e64 s0, s35, v4
	s_delay_alu instid0(VALU_DEP_1)
	v_cndmask_b32_e64 v3, 0, 1, s0
	s_cbranch_vccnz .LBB2_107
; %bb.105:
	s_xor_b32 s3, s35, 0x80000000
	s_add_nc_u64 s[10:11], s[22:23], s[26:27]
	v_cmp_lt_f32_e32 vcc_lo, s3, v4
	s_add_nc_u64 s[10:11], s[24:25], s[10:11]
	s_delay_alu instid0(SALU_CYCLE_1)
	s_add_nc_u64 s[10:11], s[10:11], 4
	s_and_b32 s0, s0, vcc_lo
	s_wait_xcnt 0x0
	v_cndmask_b32_e64 v5, v4, s3, s0
	v_mov_b32_e32 v4, 0
.LBB2_106:                              ; =>This Inner Loop Header: Depth=1
	s_clause 0x1
	global_load_b32 v6, v4, s[18:19]
	global_load_b32 v7, v4, s[10:11]
	s_add_co_i32 s33, s33, -1
	s_wait_xcnt 0x0
	s_add_nc_u64 s[10:11], s[10:11], 4
	s_add_nc_u64 s[18:19], s[18:19], 4
	s_wait_loadcnt 0x1
	v_div_scale_f32 v8, null, v5, v5, v6
	v_div_scale_f32 v11, vcc_lo, v6, v5, v6
	s_wait_loadcnt 0x0
	v_sub_f32_e32 v7, v7, v1
	s_delay_alu instid0(VALU_DEP_3)
	v_rcp_f32_e32 v9, v8
	v_nop
	v_xor_b32_e32 v8, 0x80000000, v8
	s_delay_alu instid0(TRANS32_DEP_1) | instid1(VALU_DEP_1)
	v_fma_f32 v10, v8, v9, 1.0
	s_delay_alu instid0(VALU_DEP_1) | instskip(NEXT) | instid1(VALU_DEP_1)
	v_fmac_f32_e32 v9, v10, v9
	v_mul_f32_e32 v10, v11, v9
	s_delay_alu instid0(VALU_DEP_1) | instskip(NEXT) | instid1(VALU_DEP_1)
	v_fma_f32 v12, v8, v10, v11
	v_fmac_f32_e32 v10, v12, v9
	s_delay_alu instid0(VALU_DEP_1) | instskip(NEXT) | instid1(VALU_DEP_1)
	v_fmac_f32_e32 v11, v8, v10
	v_div_fmas_f32 v8, v11, v9, v10
	s_delay_alu instid0(VALU_DEP_1) | instskip(NEXT) | instid1(VALU_DEP_1)
	v_div_fixup_f32 v5, v8, v5, v6
	v_sub_f32_e32 v5, v7, v5
	s_delay_alu instid0(VALU_DEP_1)
	v_cmp_ge_f32_e32 vcc_lo, s35, v5
	v_cmp_lt_f32_e64 s0, s3, v5
	v_add_co_ci_u32_e64 v3, null, 0, v3, vcc_lo
	s_and_b32 s0, vcc_lo, s0
	s_cmp_lg_u32 s33, 0
	v_cndmask_b32_e64 v5, v5, s3, s0
	s_cbranch_scc1 .LBB2_106
.LBB2_107:
	s_ashr_i32 s13, s12, 31
	v_mov_b32_e32 v4, 0
	s_lshl_b64 s[10:11], s[12:13], 2
	s_delay_alu instid0(SALU_CYCLE_1)
	s_add_nc_u64 s[14:15], s[4:5], s[10:11]
	s_add_nc_u64 s[10:11], s[6:7], s[10:11]
	s_clause 0x1
	global_store_b64 v4, v[0:1], s[14:15] offset:-8
	global_store_b64 v4, v[2:3], s[10:11] offset:-8
.LBB2_108:
	s_wait_xcnt 0x0
	s_or_b32 exec_lo, exec_lo, s1
	s_mov_b32 s13, 0
	s_wait_storecnt 0x0
	s_barrier_signal -1
	s_barrier_wait -1
                                        ; implicit-def: $vgpr2
                                        ; implicit-def: $vgpr1
	s_and_saveexec_b32 s3, s2
	s_cbranch_execz .LBB2_132
; %bb.109:
	s_cmp_gt_i32 s21, 0
	s_mov_b32 s0, 1
	s_cselect_b32 s13, -1, 0
	s_cmp_lt_i32 s21, 1
	s_cbranch_scc1 .LBB2_117
; %bb.110:
	v_mov_b32_e32 v0, 0
	s_cmp_lg_u64 s[40:41], 0
	s_add_nc_u64 s[10:11], s[4:5], 4
	s_cselect_b32 s26, -1, 0
	s_branch .LBB2_112
.LBB2_111:                              ;   in Loop: Header=BB2_112 Depth=1
	s_add_co_i32 s0, s0, 1
	s_add_nc_u64 s[10:11], s[10:11], 4
	s_cmp_lg_u32 s0, s12
	s_cbranch_scc0 .LBB2_117
.LBB2_112:                              ; =>This Loop Header: Depth=1
                                        ;     Child Loop BB2_113 Depth 2
	s_wait_xcnt 0x1
	v_mov_b32_e32 v1, s0
	s_ashr_i32 s1, s0, 31
	s_add_co_i32 s27, s0, -1
	s_wait_xcnt 0x0
	s_lshl_b64 s[14:15], s[0:1], 2
	s_mov_b64 s[24:25], s[10:11]
	global_load_b32 v1, v1, s[4:5] offset:-4 scale_offset
	s_add_nc_u64 s[22:23], s[4:5], s[14:15]
	s_mov_b32 s33, s0
	s_mov_b32 s18, s27
	s_wait_loadcnt 0x0
	v_readfirstlane_b32 s1, v1
	s_mov_b32 s19, s1
.LBB2_113:                              ;   Parent Loop BB2_112 Depth=1
                                        ; =>  This Inner Loop Header: Depth=2
	global_load_b32 v1, v0, s[24:25]
	s_wait_xcnt 0x0
	s_add_nc_u64 s[24:25], s[24:25], 4
	s_wait_loadcnt 0x0
	v_readfirstlane_b32 s36, v1
	s_cmp_lt_f32 s36, s19
	s_cselect_b32 s19, s36, s19
	s_cselect_b32 s18, s33, s18
	s_add_co_i32 s33, s33, 1
	s_delay_alu instid0(SALU_CYCLE_1)
	s_cmp_eq_u32 s12, s33
	s_cbranch_scc0 .LBB2_113
; %bb.114:                              ;   in Loop: Header=BB2_112 Depth=1
	s_cmp_lg_u32 s18, s27
	s_cbranch_scc0 .LBB2_111
; %bb.115:                              ;   in Loop: Header=BB2_112 Depth=1
	v_dual_mov_b32 v1, s18 :: v_dual_mov_b32 v2, s1
	v_mov_b32_e32 v3, s19
	s_and_not1_b32 vcc_lo, exec_lo, s26
	s_clause 0x1
	global_store_b32 v1, v2, s[4:5] scale_offset
	global_store_b32 v0, v3, s[22:23] offset:-4
	s_cbranch_vccnz .LBB2_111
; %bb.116:                              ;   in Loop: Header=BB2_112 Depth=1
	s_ashr_i32 s19, s18, 31
	s_add_nc_u64 s[14:15], s[6:7], s[14:15]
	s_lshl_b64 s[18:19], s[18:19], 2
	s_delay_alu instid0(SALU_CYCLE_1)
	s_add_nc_u64 s[18:19], s[6:7], s[18:19]
	s_clause 0x1
	global_load_b32 v1, v0, s[14:15] offset:-4
	global_load_b32 v2, v0, s[18:19]
	s_wait_loadcnt 0x1
	global_store_b32 v0, v1, s[18:19]
	s_wait_loadcnt 0x0
	global_store_b32 v0, v2, s[14:15] offset:-4
	s_branch .LBB2_111
.LBB2_117:
	s_wait_xcnt 0x0
	v_dual_mov_b32 v1, 0 :: v_dual_mov_b32 v2, s12
	s_cvt_f32_i32 s0, s21
	s_clause 0x1
	global_load_b32 v3, v1, s[4:5]
	global_load_b32 v4, v2, s[4:5] offset:-4 scale_offset
	s_wait_loadcnt 0x1
	v_and_b32_e32 v0, 0x7fffffff, v3
	s_wait_loadcnt 0x0
	v_and_b32_e32 v5, 0x7fffffff, v4
	s_delay_alu instid0(VALU_DEP_1) | instskip(SKIP_2) | instid1(VALU_DEP_1)
	v_cmp_lt_f32_e32 vcc_lo, v0, v5
	v_cndmask_b32_e32 v0, v3, v4, vcc_lo
	s_and_not1_b32 vcc_lo, exec_lo, s13
	v_and_b32_e32 v0, 0x7fffffff, v0
	s_delay_alu instid0(VALU_DEP_1) | instskip(SKIP_1) | instid1(VALU_DEP_2)
	v_mul_f32_e32 v5, s34, v0
	v_cndmask_b32_e64 v0, 0, 1, s13
	v_xor_b32_e32 v6, 0x80000000, v5
	s_delay_alu instid0(VALU_DEP_1) | instskip(NEXT) | instid1(VALU_DEP_1)
	v_fmac_f32_e32 v3, s0, v6
	v_dual_subrev_f32 v3, s35, v3 :: v_dual_fmac_f32 v4, s0, v5
	s_delay_alu instid0(VALU_DEP_1)
	v_add_f32_e32 v4, s35, v4
	s_clause 0x1
	global_store_b32 v1, v3, s[4:5]
	global_store_b32 v2, v4, s[4:5] offset:-4 scale_offset
	s_cbranch_vccnz .LBB2_123
; %bb.118:
	s_max_i32 s11, s12, 2
	s_add_nc_u64 s[0:1], s[6:7], 4
	s_add_co_i32 s11, s11, -1
	s_mov_b32 s13, 0
	s_branch .LBB2_120
.LBB2_119:                              ;   in Loop: Header=BB2_120 Depth=1
	s_add_co_i32 s13, s13, 1
	s_wait_xcnt 0x0
	s_add_nc_u64 s[0:1], s[0:1], 4
	s_cmp_eq_u32 s11, s13
	s_mov_b32 s10, s11
	s_cselect_b32 s14, -1, 0
	s_delay_alu instid0(SALU_CYCLE_1)
	s_and_not1_b32 vcc_lo, exec_lo, s14
	s_cbranch_vccz .LBB2_122
.LBB2_120:                              ; =>This Inner Loop Header: Depth=1
	global_load_b32 v2, v1, s[0:1]
	s_wait_loadcnt 0x0
	v_cmp_le_i32_e32 vcc_lo, s30, v2
	s_cbranch_vccz .LBB2_119
; %bb.121:
	s_mov_b32 s10, s13
                                        ; implicit-def: $sgpr0_sgpr1
.LBB2_122:
	s_mov_b32 s11, 0
	s_branch .LBB2_124
.LBB2_123:
	s_mov_b64 s[10:11], 0
.LBB2_124:
	s_wait_xcnt 0x0
	v_mov_b32_e32 v2, 0
	s_lshl_b64 s[0:1], s[10:11], 2
	v_cmp_ne_u32_e32 vcc_lo, 1, v0
	s_add_nc_u64 s[0:1], s[4:5], s[0:1]
	global_load_b32 v1, v2, s[0:1]
	s_wait_xcnt 0x0
	s_mov_b32 s1, 1
	s_cbranch_vccnz .LBB2_130
; %bb.125:
	s_max_i32 s10, s12, 2
	s_add_nc_u64 s[6:7], s[6:7], 4
	s_add_co_i32 s11, s10, -1
	s_branch .LBB2_127
.LBB2_126:
	s_mov_b32 s0, s1
                                        ; implicit-def: $sgpr6_sgpr7
	s_branch .LBB2_129
.LBB2_127:                              ; =>This Inner Loop Header: Depth=1
	global_load_b32 v0, v2, s[6:7]
	s_wait_loadcnt 0x0
	v_cmp_gt_i32_e32 vcc_lo, s31, v0
	s_cbranch_vccz .LBB2_126
; %bb.128:                              ;   in Loop: Header=BB2_127 Depth=1
	s_add_co_i32 s1, s1, 1
	s_wait_xcnt 0x0
	s_add_nc_u64 s[6:7], s[6:7], 4
	s_cmp_eq_u32 s10, s1
	s_mov_b32 s0, s11
	s_cselect_b32 s12, -1, 0
	s_delay_alu instid0(SALU_CYCLE_1)
	s_and_not1_b32 vcc_lo, exec_lo, s12
	s_cbranch_vccnz .LBB2_127
.LBB2_129:
	s_ashr_i32 s1, s0, 31
	s_branch .LBB2_131
.LBB2_130:
	s_mov_b64 s[0:1], 0
.LBB2_131:
	v_mov_b32_e32 v0, 0
	s_lshl_b64 s[0:1], s[0:1], 2
	s_mov_b32 s13, exec_lo
	s_add_nc_u64 s[0:1], s[4:5], s[0:1]
	global_load_b32 v2, v0, s[0:1]
.LBB2_132:
	s_wait_xcnt 0x0
	s_or_b32 exec_lo, exec_lo, s3
.LBB2_133:
	s_and_saveexec_b32 s0, s13
	s_cbranch_execz .LBB2_136
; %bb.134:
	s_and_b32 exec_lo, exec_lo, s2
	s_cbranch_execz .LBB2_136
; %bb.135:
	s_lshl_b32 s0, s28, 1
	s_lshl_b64 s[2:3], s[28:29], 2
	s_ashr_i32 s1, s0, 31
	v_dual_mov_b32 v0, 0 :: v_dual_mov_b32 v4, s35
	s_lshl_b64 s[0:1], s[0:1], 2
	s_cmp_eq_u32 s20, 0xe7
	s_add_nc_u64 s[2:3], s[16:17], s[2:3]
	s_cselect_b32 s4, -1, 0
	s_wait_kmcnt 0x0
	s_add_nc_u64 s[0:1], s[8:9], s[0:1]
	s_wait_loadcnt 0x0
	v_cndmask_b32_e64 v3, v2, 0, s4
	v_cndmask_b32_e64 v2, v1, 0, s4
	s_clause 0x1
	global_store_b32 v0, v4, s[2:3]
	global_store_b64 v0, v[2:3], s[0:1]
.LBB2_136:
	s_endpgm
	.section	.rodata,"a",@progbits
	.p2align	6, 0x0
	.amdhsa_kernel _ZN9rocsolver6v33100L22stebz_splitting_kernelIfPfEEv15rocblas_erange_iT_S4_iiT0_iiS5_iiPiPS4_lS6_lS6_S7_S7_S7_S7_S6_S4_S4_
		.amdhsa_group_segment_fixed_size 2048
		.amdhsa_private_segment_fixed_size 0
		.amdhsa_kernarg_size 152
		.amdhsa_user_sgpr_count 2
		.amdhsa_user_sgpr_dispatch_ptr 0
		.amdhsa_user_sgpr_queue_ptr 0
		.amdhsa_user_sgpr_kernarg_segment_ptr 1
		.amdhsa_user_sgpr_dispatch_id 0
		.amdhsa_user_sgpr_kernarg_preload_length 0
		.amdhsa_user_sgpr_kernarg_preload_offset 0
		.amdhsa_user_sgpr_private_segment_size 0
		.amdhsa_wavefront_size32 1
		.amdhsa_uses_dynamic_stack 0
		.amdhsa_enable_private_segment 0
		.amdhsa_system_sgpr_workgroup_id_x 1
		.amdhsa_system_sgpr_workgroup_id_y 1
		.amdhsa_system_sgpr_workgroup_id_z 0
		.amdhsa_system_sgpr_workgroup_info 0
		.amdhsa_system_vgpr_workitem_id 0
		.amdhsa_next_free_vgpr 32
		.amdhsa_next_free_sgpr 54
		.amdhsa_named_barrier_count 0
		.amdhsa_reserve_vcc 1
		.amdhsa_float_round_mode_32 0
		.amdhsa_float_round_mode_16_64 0
		.amdhsa_float_denorm_mode_32 3
		.amdhsa_float_denorm_mode_16_64 3
		.amdhsa_fp16_overflow 0
		.amdhsa_memory_ordered 1
		.amdhsa_forward_progress 1
		.amdhsa_inst_pref_size 54
		.amdhsa_round_robin_scheduling 0
		.amdhsa_exception_fp_ieee_invalid_op 0
		.amdhsa_exception_fp_denorm_src 0
		.amdhsa_exception_fp_ieee_div_zero 0
		.amdhsa_exception_fp_ieee_overflow 0
		.amdhsa_exception_fp_ieee_underflow 0
		.amdhsa_exception_fp_ieee_inexact 0
		.amdhsa_exception_int_div_zero 0
	.end_amdhsa_kernel
	.section	.text._ZN9rocsolver6v33100L22stebz_splitting_kernelIfPfEEv15rocblas_erange_iT_S4_iiT0_iiS5_iiPiPS4_lS6_lS6_S7_S7_S7_S7_S6_S4_S4_,"axG",@progbits,_ZN9rocsolver6v33100L22stebz_splitting_kernelIfPfEEv15rocblas_erange_iT_S4_iiT0_iiS5_iiPiPS4_lS6_lS6_S7_S7_S7_S7_S6_S4_S4_,comdat
.Lfunc_end2:
	.size	_ZN9rocsolver6v33100L22stebz_splitting_kernelIfPfEEv15rocblas_erange_iT_S4_iiT0_iiS5_iiPiPS4_lS6_lS6_S7_S7_S7_S7_S6_S4_S4_, .Lfunc_end2-_ZN9rocsolver6v33100L22stebz_splitting_kernelIfPfEEv15rocblas_erange_iT_S4_iiT0_iiS5_iiPiPS4_lS6_lS6_S7_S7_S7_S7_S6_S4_S4_
                                        ; -- End function
	.set _ZN9rocsolver6v33100L22stebz_splitting_kernelIfPfEEv15rocblas_erange_iT_S4_iiT0_iiS5_iiPiPS4_lS6_lS6_S7_S7_S7_S7_S6_S4_S4_.num_vgpr, 32
	.set _ZN9rocsolver6v33100L22stebz_splitting_kernelIfPfEEv15rocblas_erange_iT_S4_iiT0_iiS5_iiPiPS4_lS6_lS6_S7_S7_S7_S7_S6_S4_S4_.num_agpr, 0
	.set _ZN9rocsolver6v33100L22stebz_splitting_kernelIfPfEEv15rocblas_erange_iT_S4_iiT0_iiS5_iiPiPS4_lS6_lS6_S7_S7_S7_S7_S6_S4_S4_.numbered_sgpr, 54
	.set _ZN9rocsolver6v33100L22stebz_splitting_kernelIfPfEEv15rocblas_erange_iT_S4_iiT0_iiS5_iiPiPS4_lS6_lS6_S7_S7_S7_S7_S6_S4_S4_.num_named_barrier, 0
	.set _ZN9rocsolver6v33100L22stebz_splitting_kernelIfPfEEv15rocblas_erange_iT_S4_iiT0_iiS5_iiPiPS4_lS6_lS6_S7_S7_S7_S7_S6_S4_S4_.private_seg_size, 0
	.set _ZN9rocsolver6v33100L22stebz_splitting_kernelIfPfEEv15rocblas_erange_iT_S4_iiT0_iiS5_iiPiPS4_lS6_lS6_S7_S7_S7_S7_S6_S4_S4_.uses_vcc, 1
	.set _ZN9rocsolver6v33100L22stebz_splitting_kernelIfPfEEv15rocblas_erange_iT_S4_iiT0_iiS5_iiPiPS4_lS6_lS6_S7_S7_S7_S7_S6_S4_S4_.uses_flat_scratch, 0
	.set _ZN9rocsolver6v33100L22stebz_splitting_kernelIfPfEEv15rocblas_erange_iT_S4_iiT0_iiS5_iiPiPS4_lS6_lS6_S7_S7_S7_S7_S6_S4_S4_.has_dyn_sized_stack, 0
	.set _ZN9rocsolver6v33100L22stebz_splitting_kernelIfPfEEv15rocblas_erange_iT_S4_iiT0_iiS5_iiPiPS4_lS6_lS6_S7_S7_S7_S7_S6_S4_S4_.has_recursion, 0
	.set _ZN9rocsolver6v33100L22stebz_splitting_kernelIfPfEEv15rocblas_erange_iT_S4_iiT0_iiS5_iiPiPS4_lS6_lS6_S7_S7_S7_S7_S6_S4_S4_.has_indirect_call, 0
	.section	.AMDGPU.csdata,"",@progbits
; Kernel info:
; codeLenInByte = 6828
; TotalNumSgprs: 56
; NumVgprs: 32
; ScratchSize: 0
; MemoryBound: 0
; FloatMode: 240
; IeeeMode: 1
; LDSByteSize: 2048 bytes/workgroup (compile time only)
; SGPRBlocks: 0
; VGPRBlocks: 1
; NumSGPRsForWavesPerEU: 56
; NumVGPRsForWavesPerEU: 32
; NamedBarCnt: 0
; Occupancy: 16
; WaveLimiterHint : 1
; COMPUTE_PGM_RSRC2:SCRATCH_EN: 0
; COMPUTE_PGM_RSRC2:USER_SGPR: 2
; COMPUTE_PGM_RSRC2:TRAP_HANDLER: 0
; COMPUTE_PGM_RSRC2:TGID_X_EN: 1
; COMPUTE_PGM_RSRC2:TGID_Y_EN: 1
; COMPUTE_PGM_RSRC2:TGID_Z_EN: 0
; COMPUTE_PGM_RSRC2:TIDIG_COMP_CNT: 0
	.section	.text._ZN9rocsolver6v33100L22stebz_bisection_kernelIfPfEEv15rocblas_erange_iT_T0_iiS5_iiPiPS4_lS6_lS6_lS6_S6_S7_S7_S7_S7_S6_S4_S4_,"axG",@progbits,_ZN9rocsolver6v33100L22stebz_bisection_kernelIfPfEEv15rocblas_erange_iT_T0_iiS5_iiPiPS4_lS6_lS6_lS6_S6_S7_S7_S7_S7_S6_S4_S4_,comdat
	.globl	_ZN9rocsolver6v33100L22stebz_bisection_kernelIfPfEEv15rocblas_erange_iT_T0_iiS5_iiPiPS4_lS6_lS6_lS6_S6_S7_S7_S7_S7_S6_S4_S4_ ; -- Begin function _ZN9rocsolver6v33100L22stebz_bisection_kernelIfPfEEv15rocblas_erange_iT_T0_iiS5_iiPiPS4_lS6_lS6_lS6_S6_S7_S7_S7_S7_S6_S4_S4_
	.p2align	8
	.type	_ZN9rocsolver6v33100L22stebz_bisection_kernelIfPfEEv15rocblas_erange_iT_T0_iiS5_iiPiPS4_lS6_lS6_lS6_S6_S7_S7_S7_S7_S6_S4_S4_,@function
_ZN9rocsolver6v33100L22stebz_bisection_kernelIfPfEEv15rocblas_erange_iT_T0_iiS5_iiPiPS4_lS6_lS6_lS6_S6_S7_S7_S7_S7_S6_S4_S4_: ; @_ZN9rocsolver6v33100L22stebz_bisection_kernelIfPfEEv15rocblas_erange_iT_T0_iiS5_iiPiPS4_lS6_lS6_lS6_S6_S7_S7_S7_S7_S6_S4_S4_
; %bb.0:
	s_load_b512 s[4:19], s[0:1], 0x30
	s_bfe_u32 s2, ttmp6, 0x4000c
	s_bfe_u32 s20, ttmp6, 0x40010
	s_add_co_i32 s2, s2, 1
	s_and_b32 s3, ttmp6, 15
	s_mul_i32 s2, ttmp9, s2
	s_add_co_i32 s20, s20, 1
	s_add_co_i32 s3, s3, s2
	s_mul_i32 s2, ttmp7, s20
	s_bfe_u32 s20, ttmp6, 0x40004
	s_getreg_b32 s21, hwreg(HW_REG_IB_STS2, 6, 4)
	s_add_co_i32 s20, s20, s2
	s_cmp_eq_u32 s21, 0
	s_cselect_b32 s44, ttmp7, s20
	s_cselect_b32 s34, ttmp9, s3
	s_ashr_i32 s45, s44, 31
	s_delay_alu instid0(SALU_CYCLE_1)
	s_lshl_b64 s[2:3], s[44:45], 2
	s_wait_kmcnt 0x0
	s_add_nc_u64 s[4:5], s[4:5], s[2:3]
	s_load_b32 s31, s[4:5], 0x0
	s_wait_kmcnt 0x0
	s_cmp_ge_i32 s34, s31
	s_cbranch_scc1 .LBB3_96
; %bb.1:
	s_clause 0x2
	s_load_b256 s[20:27], s[0:1], 0x10
	s_load_b96 s[28:30], s[0:1], 0x0
	s_load_b256 s[36:43], s[0:1], 0x70
	s_mul_u64 s[4:5], s[8:9], s[44:45]
	s_mul_u64 s[8:9], s[12:13], s[44:45]
	;; [unrolled: 1-line block ×3, first 2 shown]
	s_lshl_b64 s[48:49], s[8:9], 2
	s_lshl_b64 s[4:5], s[4:5], 2
	v_dual_mov_b32 v15, 0 :: v_dual_lshlrev_b32 v12, 4, v0
	v_and_b32_e32 v13, 0x7c, v0
	s_add_nc_u64 s[10:11], s[10:11], s[48:49]
	v_lshl_or_b32 v1, v0, 2, 0x1000
	s_delay_alu instid0(VALU_DEP_3)
	v_or_b32_e32 v14, 0x800, v12
	v_mov_b32_e32 v16, 1
                                        ; implicit-def: $sgpr65
                                        ; implicit-def: $sgpr66
                                        ; implicit-def: $sgpr67
                                        ; implicit-def: $sgpr68
                                        ; implicit-def: $vgpr17
	s_wait_kmcnt 0x0
	s_ashr_i32 s9, s22, 31
	s_mov_b32 s8, s22
	s_ashr_i32 s47, s27, 31
	s_mov_b32 s46, s27
	;; [unrolled: 2-line block ×4, first 2 shown]
	s_add_nc_u64 s[26:27], s[38:39], s[2:3]
	s_lshl_b64 s[38:39], s[8:9], 2
	s_mul_u64 s[8:9], s[46:47], s[44:45]
	s_add_co_i32 s33, s29, -1
	s_lshl_b64 s[54:55], s[8:9], 2
	s_load_b32 s8, s[26:27], 0x0
	s_mul_u64 s[16:17], s[16:17], s[44:45]
	s_lshl_b64 s[50:51], s[22:23], 2
	s_mul_i32 s22, s33, s44
	s_lshl_b64 s[52:53], s[16:17], 2
	s_ashr_i32 s23, s22, 31
	s_mul_i32 s16, s29, s44
	s_wait_xcnt 0x0
	s_lshl_b64 s[26:27], s[12:13], 2
	s_lshl_b64 s[56:57], s[22:23], 2
	s_lshl_b32 s12, s44, 1
	s_lshl_b32 s22, s16, 2
	s_ashr_i32 s13, s12, 31
	s_ashr_i32 s23, s22, 31
	;; [unrolled: 1-line block ×3, first 2 shown]
	s_lshl_b64 s[58:59], s[12:13], 2
	s_lshl_b64 s[60:61], s[22:23], 2
	s_lshl_b64 s[22:23], s[16:17], 2
	s_cmp_lt_f32 s30, 0
	s_load_b128 s[44:47], s[0:1], 0x90
	s_add_nc_u64 s[12:13], s[18:19], s[2:3]
	s_add_nc_u64 s[16:17], s[6:7], s[4:5]
	s_cselect_b32 s33, -1, 0
	s_cmp_lg_u32 s28, 0xe7
	s_load_b32 s28, s[0:1], 0xa0
	s_cselect_b32 s62, -1, 0
	s_wait_kmcnt 0x0
	s_cmp_lt_f32 s8, 0x800000
	s_add_nc_u64 s[4:5], s[20:21], s[52:53]
	s_add_nc_u64 s[14:15], s[14:15], s[26:27]
	;; [unrolled: 1-line block ×3, first 2 shown]
	s_cselect_b32 s1, 0x4f800000, 1.0
	s_cselect_b32 s35, 0x41b17218, 0
	s_mul_f32 s2, s8, s1
	s_add_nc_u64 s[22:23], s[36:37], s[22:23]
	s_add_nc_u64 s[48:49], s[52:53], s[38:39]
	v_cmp_eq_u32_e64 s0, 0, v0
	v_s_log_f32 s3, s2
	v_cmp_ne_u32_e64 s1, 0, v0
	v_cmp_lt_u32_e64 s2, 3, v0
	s_add_nc_u64 s[18:19], s[42:43], s[58:59]
	s_add_nc_u64 s[38:39], s[40:41], s[56:57]
	;; [unrolled: 1-line block ×4, first 2 shown]
	s_delay_alu instid0(TRANS32_DEP_1) | instskip(SKIP_2) | instid1(SALU_CYCLE_1)
	s_mul_f32 s6, s3, 0x3f317217
	s_and_b32 s5, s3, 0x7fffffff
	s_add_f32 s63, s28, s28
	s_xor_b32 s9, s6, 0x80000000
	s_cmp_lt_f32 s5, 0x7f800000
	s_fmamk_f32 s9, s3, 0x3f317217, s9
	s_add_nc_u64 s[6:7], s[24:25], s[54:55]
	s_delay_alu instid0(SALU_CYCLE_1) | instskip(NEXT) | instid1(SALU_CYCLE_1)
	s_add_nc_u64 s[36:37], s[6:7], s[50:51]
	s_fmamk_f32 s4, s3, 0x3377d1cf, s9
	s_add_nc_u64 s[6:7], s[54:55], s[50:51]
	s_mov_b32 s9, s8
	s_add_nc_u64 s[6:7], s[24:25], s[6:7]
	s_fmamk_f32 s4, s3, 0x3f317217, s4
	s_add_nc_u64 s[44:45], s[6:7], 4
	s_delay_alu instid0(SALU_CYCLE_2)
	s_cselect_b32 s3, s4, s3
	s_add_nc_u64 s[4:5], s[20:21], s[48:49]
	s_sub_f32 s64, s3, s35
	v_cmp_ne_u32_e64 s3, v0, v13
	s_mov_b64 s[20:21], 0x3fe62e42fefa39ef
	s_add_nc_u64 s[24:25], s[4:5], 4
	s_branch .LBB3_4
.LBB3_2:                                ;   in Loop: Header=BB3_4 Depth=1
	s_wait_xcnt 0x0
	s_or_b32 exec_lo, exec_lo, s4
	v_mov_b32_e32 v5, v17
	s_mov_b32 s59, s68
	s_mov_b32 s35, s67
	;; [unrolled: 1-line block ×4, first 2 shown]
.LBB3_3:                                ;   in Loop: Header=BB3_4 Depth=1
	v_mov_b32_e32 v17, v5
	s_add_co_i32 s34, s34, 64
	s_mov_b32 s65, s58
	s_cmp_lt_i32 s34, s31
	s_mov_b32 s66, s60
	s_mov_b32 s67, s35
	;; [unrolled: 1-line block ×3, first 2 shown]
	s_wait_loadcnt 0x0
	s_wait_storecnt 0x0
	s_barrier_signal -1
	s_barrier_wait -1
	s_cbranch_scc0 .LBB3_96
.LBB3_4:                                ; =>This Loop Header: Depth=1
                                        ;     Child Loop BB3_9 Depth 2
                                        ;     Child Loop BB3_20 Depth 2
	;; [unrolled: 1-line block ×4, first 2 shown]
                                        ;       Child Loop BB3_37 Depth 3
                                        ;         Child Loop BB3_40 Depth 4
                                        ;         Child Loop BB3_54 Depth 4
	;; [unrolled: 1-line block ×3, first 2 shown]
                                        ;     Child Loop BB3_75 Depth 2
                                        ;       Child Loop BB3_78 Depth 3
                                        ;       Child Loop BB3_82 Depth 3
	s_ashr_i32 s35, s34, 31
	s_cmp_eq_u32 s34, 0
	s_mov_b32 s46, 0
	s_cbranch_scc1 .LBB3_6
; %bb.5:                                ;   in Loop: Header=BB3_4 Depth=1
	s_lshl_b64 s[4:5], s[34:35], 2
	s_delay_alu instid0(SALU_CYCLE_1)
	s_add_nc_u64 s[4:5], s[14:15], s[4:5]
	global_load_b32 v2, v15, s[4:5] offset:-4
	s_wait_loadcnt 0x0
	v_readfirstlane_b32 s46, v2
.LBB3_6:                                ;   in Loop: Header=BB3_4 Depth=1
	s_lshl_b64 s[48:49], s[34:35], 2
	s_delay_alu instid0(SALU_CYCLE_1) | instskip(SKIP_4) | instid1(VALU_DEP_2)
	s_add_nc_u64 s[4:5], s[14:15], s[48:49]
	global_load_b32 v3, v15, s[4:5]
	s_wait_loadcnt 0x0
	v_subrev_nc_u32_e32 v2, s46, v3
	v_readfirstlane_b32 s71, v3
	v_cmp_ne_u32_e32 vcc_lo, 1, v2
	s_cbranch_vccz .LBB3_69
; %bb.7:                                ;   in Loop: Header=BB3_4 Depth=1
	v_mov_b32_e32 v3, s46
	v_cmp_gt_i32_e32 vcc_lo, 3, v2
	s_ashr_i32 s47, s46, 31
	s_clause 0x1
	global_load_b32 v4, v3, s[36:37] scale_offset
	global_load_b32 v5, v3, s[26:27] scale_offset
	s_lshl_b64 s[6:7], s[46:47], 2
	s_and_b32 vcc_lo, exec_lo, vcc_lo
	s_add_nc_u64 s[50:51], s[24:25], s[6:7]
	s_wait_loadcnt 0x1
	v_readfirstlane_b32 s4, v4
	s_wait_loadcnt 0x0
	v_readfirstlane_b32 s70, v5
	s_and_b32 s55, s4, 0x7fffffff
	s_delay_alu instid0(SALU_CYCLE_1)
	s_sub_f32 s54, s70, s55
	s_add_f32 s35, s70, s55
	s_cbranch_vccnz .LBB3_10
; %bb.8:                                ;   in Loop: Header=BB3_4 Depth=1
	s_sub_co_i32 s52, s71, s46
	s_add_nc_u64 s[4:5], s[24:25], s[6:7]
	s_add_co_i32 s56, s52, -2
	s_add_nc_u64 s[52:53], s[44:45], s[6:7]
.LBB3_9:                                ;   Parent Loop BB3_4 Depth=1
                                        ; =>  This Inner Loop Header: Depth=2
	s_clause 0x1
	global_load_b32 v3, v15, s[4:5]
	global_load_b32 v4, v15, s[52:53]
	s_mov_b32 s57, s55
	s_wait_xcnt 0x1
	s_add_nc_u64 s[4:5], s[4:5], 4
	s_wait_xcnt 0x0
	s_add_nc_u64 s[52:53], s[52:53], 4
	s_wait_loadcnt 0x1
	v_readfirstlane_b32 s58, v3
	s_wait_loadcnt 0x0
	v_readfirstlane_b32 s55, v4
	s_sub_f32 s59, s58, s57
	s_bitset0_b32 s55, 31
	s_add_f32 s57, s57, s58
	s_delay_alu instid0(SALU_CYCLE_1) | instskip(NEXT) | instid1(SALU_CYCLE_2)
	s_sub_f32 s58, s59, s55
	s_add_f32 s57, s57, s55
	s_delay_alu instid0(SALU_CYCLE_2) | instskip(SKIP_1) | instid1(SALU_CYCLE_1)
	s_cmp_lt_f32 s58, s54
	s_cselect_b32 s54, s58, s54
	s_cmp_lt_f32 s35, s57
	s_cselect_b32 s35, s57, s35
	s_add_co_i32 s56, s56, -1
	s_delay_alu instid0(SALU_CYCLE_1)
	s_cmp_lg_u32 s56, 0
	s_cbranch_scc1 .LBB3_9
.LBB3_10:                               ;   in Loop: Header=BB3_4 Depth=1
	s_add_nc_u64 s[52:53], s[26:27], s[6:7]
	v_mov_b64_e32 v[4:5], s[8:9]
	global_load_b32 v3, v2, s[52:53] offset:-4 scale_offset
	s_wait_loadcnt 0x0
	v_readfirstlane_b32 s4, v3
	v_cvt_f32_i32_e32 v3, v2
	s_sub_f32 s5, s4, s55
	s_add_f32 s4, s55, s4
	s_delay_alu instid0(SALU_CYCLE_2) | instskip(SKIP_1) | instid1(SALU_CYCLE_1)
	s_cmp_lt_f32 s5, s54
	s_cselect_b32 s5, s5, s54
	s_cmp_lt_f32 s35, s4
	s_cselect_b32 s4, s4, s35
	s_and_b32 s35, s5, 0x7fffffff
	s_and_b32 s54, s4, 0x7fffffff
	s_delay_alu instid0(SALU_CYCLE_1) | instskip(SKIP_3) | instid1(SALU_CYCLE_1)
	s_cmp_lt_f32 s35, s54
	s_cselect_b32 s35, s4, s5
	s_and_not1_b32 vcc_lo, exec_lo, s62
	s_bitset0_b32 s35, 31
	s_mul_f32 s69, s28, s35
	s_delay_alu instid0(SALU_CYCLE_3) | instskip(SKIP_2) | instid1(VALU_DEP_1)
	s_xor_b32 s35, s69, 0x80000000
	v_fma_f32 v7, s69, v3, s4
	v_fma_f32 v6, s35, v3, s5
	v_pk_add_f32 v[8:9], v[6:7], v[4:5] neg_lo:[0,1] neg_hi:[0,1]
	v_pk_add_f32 v[4:5], v[6:7], v[4:5]
	s_delay_alu instid0(VALU_DEP_2) | instskip(NEXT) | instid1(VALU_DEP_2)
	v_readfirstlane_b32 s54, v8
	v_readfirstlane_b32 s55, v5
	s_cbranch_vccnz .LBB3_12
; %bb.11:                               ;   in Loop: Header=BB3_4 Depth=1
	global_load_b64 v[4:5], v15, s[18:19]
	s_wait_loadcnt 0x0
	v_readfirstlane_b32 s4, v4
	v_readfirstlane_b32 s5, v5
	s_cmp_lt_f32 s54, s4
	s_cselect_b32 s54, s4, s54
	s_cmp_lt_f32 s5, s55
	s_cselect_b32 s55, s5, s55
.LBB3_12:                               ;   in Loop: Header=BB3_4 Depth=1
	s_delay_alu instid0(SALU_CYCLE_1)
	s_cmp_nlt_f32 s54, s55
	s_mov_b32 s4, -1
	s_cbranch_scc0 .LBB3_16
; %bb.13:                               ;   in Loop: Header=BB3_4 Depth=1
	s_and_saveexec_b32 s4, s0
	s_cbranch_execz .LBB3_15
; %bb.14:                               ;   in Loop: Header=BB3_4 Depth=1
	s_add_nc_u64 s[56:57], s[22:23], s[48:49]
	ds_store_b16 v15, v15 offset:4612
	global_store_b32 v15, v15, s[56:57]
.LBB3_15:                               ;   in Loop: Header=BB3_4 Depth=1
	s_wait_xcnt 0x0
	s_or_b32 exec_lo, exec_lo, s4
	s_mov_b32 s4, 0
.LBB3_16:                               ;   in Loop: Header=BB3_4 Depth=1
	v_mov_b32_e32 v5, v17
	s_mov_b32 s59, s68
	s_and_not1_b32 vcc_lo, exec_lo, s4
	s_mov_b32 s35, s67
	s_mov_b32 s58, s65
	s_cbranch_vccnz .LBB3_29
; %bb.17:                               ;   in Loop: Header=BB3_4 Depth=1
	s_sub_f32 s4, s55, s54
	s_delay_alu instid0(SALU_CYCLE_3) | instskip(NEXT) | instid1(SALU_CYCLE_3)
	s_add_f32 s4, s8, s4
	s_cmp_lt_f32 s4, 0x800000
	s_cselect_b32 s5, 0x4f800000, 1.0
	s_cselect_b32 s35, 0x41b17218, 0
	s_mul_f32 s4, s4, s5
	s_delay_alu instid0(SALU_CYCLE_3) | instskip(NEXT) | instid1(TRANS32_DEP_1)
	v_s_log_f32 s4, s4
	s_mul_f32 s5, s4, 0x3f317217
	s_and_b32 s56, s4, 0x7fffffff
	s_delay_alu instid0(SALU_CYCLE_2) | instskip(SKIP_2) | instid1(SALU_CYCLE_3)
	s_xor_b32 s5, s5, 0x80000000
	s_cmp_lt_f32 s56, 0x7f800000
	s_fmamk_f32 s5, s4, 0x3f317217, s5
	s_fmamk_f32 s5, s4, 0x3377d1cf, s5
	s_delay_alu instid0(SALU_CYCLE_3) | instskip(NEXT) | instid1(SALU_CYCLE_3)
	s_fmamk_f32 s5, s4, 0x3f317217, s5
	s_cselect_b32 s4, s5, s4
	s_delay_alu instid0(SALU_CYCLE_1) | instskip(NEXT) | instid1(SALU_CYCLE_3)
	s_sub_f32 s4, s4, s35
	s_sub_f32 s4, s4, s64
	v_nop
	s_delay_alu instid0(SALU_CYCLE_2) | instskip(NEXT) | instid1(VALU_DEP_1)
	v_cvt_f64_f32_e32 v[4:5], s4
	v_div_scale_f64 v[6:7], null, s[20:21], s[20:21], v[4:5]
	v_div_scale_f64 v[18:19], vcc_lo, v[4:5], s[20:21], v[4:5]
	s_delay_alu instid0(VALU_DEP_2) | instskip(SKIP_1) | instid1(TRANS32_DEP_1)
	v_rcp_f64_e32 v[8:9], v[6:7]
	v_nop
	v_fma_f64 v[10:11], -v[6:7], v[8:9], 1.0
	s_delay_alu instid0(VALU_DEP_1) | instskip(NEXT) | instid1(VALU_DEP_1)
	v_fmac_f64_e32 v[8:9], v[8:9], v[10:11]
	v_fma_f64 v[10:11], -v[6:7], v[8:9], 1.0
	s_delay_alu instid0(VALU_DEP_1) | instskip(NEXT) | instid1(VALU_DEP_1)
	v_fmac_f64_e32 v[8:9], v[8:9], v[10:11]
	v_mul_f64_e32 v[10:11], v[18:19], v[8:9]
	s_delay_alu instid0(VALU_DEP_1) | instskip(NEXT) | instid1(VALU_DEP_1)
	v_fma_f64 v[6:7], -v[6:7], v[10:11], v[18:19]
	v_div_fmas_f64 v[6:7], v[6:7], v[8:9], v[10:11]
	s_delay_alu instid0(VALU_DEP_1) | instskip(NEXT) | instid1(VALU_DEP_1)
	v_div_fixup_f64 v[4:5], v[6:7], s[20:21], v[4:5]
	v_cvt_i32_f64_e32 v3, v[4:5]
	v_mov_b32_e32 v5, v17
	s_delay_alu instid0(VALU_DEP_2)
	v_readfirstlane_b32 s35, v3
	s_and_saveexec_b32 s72, s0
	s_cbranch_execz .LBB3_28
; %bb.18:                               ;   in Loop: Header=BB3_4 Depth=1
	s_sub_f32 s5, s70, s54
	v_cmp_gt_i32_e32 vcc_lo, 2, v2
	v_cmp_lt_i32_e64 s4, 1, v2
	s_add_nc_u64 s[56:57], s[38:39], s[6:7]
	s_cmp_le_f32 s5, s8
	ds_store_b8 v15, v15 offset:4613
	s_cselect_b32 s58, -1, 0
	s_delay_alu instid0(SALU_CYCLE_1)
	v_cndmask_b32_e64 v4, 0, 1, s58
	s_cbranch_vccnz .LBB3_21
; %bb.19:                               ;   in Loop: Header=BB3_4 Depth=1
	s_xor_b32 s73, s8, 0x80000000
	s_mov_b64 s[60:61], s[56:57]
	s_cmp_gt_f32 s5, s73
	s_cselect_b32 s59, -1, 0
	s_delay_alu instid0(SALU_CYCLE_1) | instskip(NEXT) | instid1(SALU_CYCLE_1)
	s_and_b32 s58, s58, s59
	s_and_b32 s58, s58, exec_lo
	s_cselect_b32 s5, s73, s5
	s_not_b32 s58, s46
	v_mov_b32_e32 v3, s5
	s_add_co_i32 s74, s58, s71
	s_add_nc_u64 s[58:59], s[24:25], s[6:7]
.LBB3_20:                               ;   Parent Loop BB3_4 Depth=1
                                        ; =>  This Inner Loop Header: Depth=2
	s_clause 0x1
	global_load_b32 v5, v15, s[60:61]
	global_load_b32 v6, v15, s[58:59]
	s_add_co_i32 s74, s74, -1
	s_wait_xcnt 0x0
	s_add_nc_u64 s[58:59], s[58:59], 4
	s_add_nc_u64 s[60:61], s[60:61], 4
	s_wait_loadcnt 0x1
	v_div_scale_f32 v7, null, v3, v3, v5
	v_div_scale_f32 v10, vcc_lo, v5, v3, v5
	s_wait_loadcnt 0x0
	v_subrev_f32_e32 v6, s54, v6
	s_delay_alu instid0(VALU_DEP_3)
	v_rcp_f32_e32 v8, v7
	v_nop
	v_xor_b32_e32 v7, 0x80000000, v7
	s_delay_alu instid0(TRANS32_DEP_1) | instid1(VALU_DEP_1)
	v_fma_f32 v9, v7, v8, 1.0
	s_delay_alu instid0(VALU_DEP_1) | instskip(NEXT) | instid1(VALU_DEP_1)
	v_fmac_f32_e32 v8, v9, v8
	v_mul_f32_e32 v9, v10, v8
	s_delay_alu instid0(VALU_DEP_1) | instskip(NEXT) | instid1(VALU_DEP_1)
	v_fma_f32 v11, v7, v9, v10
	v_fmac_f32_e32 v9, v11, v8
	s_delay_alu instid0(VALU_DEP_1) | instskip(NEXT) | instid1(VALU_DEP_1)
	v_fmac_f32_e32 v10, v7, v9
	v_div_fmas_f32 v7, v10, v8, v9
	s_delay_alu instid0(VALU_DEP_1) | instskip(NEXT) | instid1(VALU_DEP_1)
	v_div_fixup_f32 v3, v7, v3, v5
	v_sub_f32_e32 v3, v6, v3
	s_delay_alu instid0(VALU_DEP_1)
	v_cmp_ge_f32_e32 vcc_lo, s8, v3
	v_cmp_lt_f32_e64 s5, s73, v3
	v_add_co_ci_u32_e64 v4, null, 0, v4, vcc_lo
	s_and_b32 s5, vcc_lo, s5
	s_cmp_lg_u32 s74, 0
	v_cndmask_b32_e64 v3, v3, s73, s5
	s_cbranch_scc1 .LBB3_20
.LBB3_21:                               ;   in Loop: Header=BB3_4 Depth=1
	s_sub_f32 s58, s70, s55
	s_delay_alu instid0(SALU_CYCLE_3)
	s_cmp_le_f32 s58, s8
	s_cselect_b32 s59, -1, 0
	s_and_not1_b32 vcc_lo, exec_lo, s4
	v_cndmask_b32_e64 v5, 0, 1, s59
	s_cbranch_vccnz .LBB3_24
; %bb.22:                               ;   in Loop: Header=BB3_4 Depth=1
	s_xor_b32 s5, s8, 0x80000000
	s_delay_alu instid0(SALU_CYCLE_1) | instskip(SKIP_1) | instid1(SALU_CYCLE_1)
	s_cmp_gt_f32 s58, s5
	s_cselect_b32 s4, -1, 0
	s_and_b32 s4, s59, s4
	s_delay_alu instid0(SALU_CYCLE_1)
	s_and_b32 s4, s4, exec_lo
	s_cselect_b32 s4, s5, s58
	s_not_b32 s58, s46
	v_mov_b32_e32 v3, s4
	s_add_co_i32 s60, s58, s71
	s_add_nc_u64 s[58:59], s[24:25], s[6:7]
.LBB3_23:                               ;   Parent Loop BB3_4 Depth=1
                                        ; =>  This Inner Loop Header: Depth=2
	s_clause 0x1
	global_load_b32 v6, v15, s[56:57]
	global_load_b32 v7, v15, s[58:59]
	s_add_co_i32 s60, s60, -1
	s_wait_xcnt 0x0
	s_add_nc_u64 s[58:59], s[58:59], 4
	s_add_nc_u64 s[56:57], s[56:57], 4
	s_wait_loadcnt 0x1
	v_div_scale_f32 v8, null, v3, v3, v6
	v_div_scale_f32 v11, vcc_lo, v6, v3, v6
	s_wait_loadcnt 0x0
	v_subrev_f32_e32 v7, s55, v7
	s_delay_alu instid0(VALU_DEP_3)
	v_rcp_f32_e32 v9, v8
	v_nop
	v_xor_b32_e32 v8, 0x80000000, v8
	s_delay_alu instid0(TRANS32_DEP_1) | instid1(VALU_DEP_1)
	v_fma_f32 v10, v8, v9, 1.0
	s_delay_alu instid0(VALU_DEP_1) | instskip(NEXT) | instid1(VALU_DEP_1)
	v_fmac_f32_e32 v9, v10, v9
	v_mul_f32_e32 v10, v11, v9
	s_delay_alu instid0(VALU_DEP_1) | instskip(NEXT) | instid1(VALU_DEP_1)
	v_fma_f32 v18, v8, v10, v11
	v_fmac_f32_e32 v10, v18, v9
	s_delay_alu instid0(VALU_DEP_1) | instskip(NEXT) | instid1(VALU_DEP_1)
	v_fmac_f32_e32 v11, v8, v10
	v_div_fmas_f32 v8, v11, v9, v10
	s_delay_alu instid0(VALU_DEP_1) | instskip(NEXT) | instid1(VALU_DEP_1)
	v_div_fixup_f32 v3, v8, v3, v6
	v_sub_f32_e32 v3, v7, v3
	s_delay_alu instid0(VALU_DEP_1)
	v_cmp_ge_f32_e32 vcc_lo, s8, v3
	v_cmp_lt_f32_e64 s4, s5, v3
	v_add_co_ci_u32_e64 v5, null, 0, v5, vcc_lo
	s_and_b32 s4, vcc_lo, s4
	s_cmp_lg_u32 s60, 0
	v_cndmask_b32_e64 v3, v3, s5, s4
	s_cbranch_scc1 .LBB3_23
.LBB3_24:                               ;   in Loop: Header=BB3_4 Depth=1
	s_delay_alu instid0(VALU_DEP_1) | instskip(SKIP_1) | instid1(VALU_DEP_1)
	v_sub_nc_u32_e32 v3, v5, v4
	s_mov_b32 s4, -1
	v_cmp_gt_i32_e32 vcc_lo, 1, v3
	s_cbranch_vccz .LBB3_26
; %bb.25:                               ;   in Loop: Header=BB3_4 Depth=1
	s_add_nc_u64 s[56:57], s[22:23], s[48:49]
	s_mov_b32 s4, 0
	ds_store_b8 v15, v15 offset:4612
	global_store_b32 v15, v15, s[56:57]
.LBB3_26:                               ;   in Loop: Header=BB3_4 Depth=1
	s_and_not1_b32 vcc_lo, exec_lo, s4
	s_cbranch_vccnz .LBB3_28
; %bb.27:                               ;   in Loop: Header=BB3_4 Depth=1
	s_add_co_i32 s4, s46, s29
	v_mov_b64_e32 v[6:7], s[54:55]
	s_lshl_b32 s4, s4, 1
	s_add_nc_u64 s[54:55], s[22:23], s[48:49]
	s_ashr_i32 s5, s4, 31
	ds_store_b8 v15, v16 offset:4612
	s_lshl_b64 s[4:5], s[4:5], 2
	s_wait_xcnt 0x0
	s_add_nc_u64 s[56:57], s[40:41], s[4:5]
	s_add_nc_u64 s[4:5], s[42:43], s[4:5]
	s_clause 0x2
	global_store_b64 v15, v[6:7], s[56:57]
	global_store_b32 v15, v3, s[54:55]
	global_store_b64 v15, v[4:5], s[4:5]
.LBB3_28:                               ;   in Loop: Header=BB3_4 Depth=1
	s_wait_xcnt 0x0
	s_or_b32 exec_lo, exec_lo, s72
	s_add_co_i32 s35, s35, 2
	s_mov_b32 s58, 0
	s_mov_b32 s59, 1
.LBB3_29:                               ;   in Loop: Header=BB3_4 Depth=1
	s_wait_storecnt_dscnt 0x0
	s_barrier_signal -1
	s_barrier_wait -1
	ds_load_u16 v3, v15 offset:4612
	s_wait_dscnt 0x0
	v_readfirstlane_b32 s4, v3
	s_bitcmp1_b32 s4, 0
	s_cselect_b32 s5, -1, 0
	s_bitcmp1_b32 s4, 8
	s_cselect_b32 s56, -1, 0
	s_delay_alu instid0(SALU_CYCLE_1) | instskip(NEXT) | instid1(SALU_CYCLE_1)
	s_xor_b32 s4, s56, -1
	s_and_b32 s4, s5, s4
	s_cmp_lt_i32 s58, s35
	s_cselect_b32 s54, -1, 0
	s_delay_alu instid0(SALU_CYCLE_1) | instskip(NEXT) | instid1(SALU_CYCLE_1)
	s_and_b32 s4, s4, s54
	s_and_not1_b32 vcc_lo, exec_lo, s4
	s_cbranch_vccnz .LBB3_70
; %bb.30:                               ;   in Loop: Header=BB3_4 Depth=1
	s_and_b32 s4, s33, exec_lo
	s_cselect_b32 s5, s69, s30
	v_cmp_lt_i32_e64 s4, 1, v2
	s_cmp_lt_f32 s5, s8
	s_add_nc_u64 s[54:55], s[38:39], s[6:7]
	s_cselect_b32 s61, s8, s5
	s_add_co_i32 s5, s46, s29
	s_not_b32 s6, s46
	s_lshl_b32 s69, s46, 1
	s_lshl_b32 s70, s5, 1
	s_add_co_i32 s71, s6, s71
	s_branch .LBB3_32
.LBB3_31:                               ;   in Loop: Header=BB3_32 Depth=2
	s_or_b32 exec_lo, exec_lo, s5
	s_wait_dscnt 0x0
	s_barrier_signal -1
	s_barrier_wait -1
	ds_load_u16 v2, v15 offset:4612
	s_add_co_i32 s58, s58, 1
	s_wait_dscnt 0x0
	v_readfirstlane_b32 s6, v2
	s_bitcmp1_b32 s6, 0
	s_cselect_b32 s5, -1, 0
	s_bitcmp1_b32 s6, 8
	s_cselect_b32 s56, -1, 0
	s_delay_alu instid0(SALU_CYCLE_1) | instskip(NEXT) | instid1(SALU_CYCLE_1)
	s_xor_b32 s6, s56, -1
	s_and_b32 s6, s5, s6
	s_cmp_lt_i32 s58, s35
	s_cselect_b32 s7, -1, 0
	s_delay_alu instid0(SALU_CYCLE_1) | instskip(NEXT) | instid1(SALU_CYCLE_1)
	s_and_b32 s6, s6, s7
	s_and_b32 vcc_lo, exec_lo, s6
	s_cbranch_vccz .LBB3_71
.LBB3_32:                               ;   Parent Loop BB3_4 Depth=1
                                        ; =>  This Loop Header: Depth=2
                                        ;       Child Loop BB3_37 Depth 3
                                        ;         Child Loop BB3_40 Depth 4
                                        ;         Child Loop BB3_54 Depth 4
	;; [unrolled: 1-line block ×3, first 2 shown]
	s_and_saveexec_b32 s5, s0
; %bb.33:                               ;   in Loop: Header=BB3_32 Depth=2
	ds_store_b32 v15, v15 offset:4608
; %bb.34:                               ;   in Loop: Header=BB3_32 Depth=2
	s_or_b32 exec_lo, exec_lo, s5
	s_bitcmp0_b32 s58, 0
	s_cselect_b32 s5, -1, 0
	s_delay_alu instid0(SALU_CYCLE_1)
	s_and_b32 s6, s5, exec_lo
	s_cselect_b32 s60, s69, s70
	s_cmp_lt_i32 s59, 1
	s_cbranch_scc1 .LBB3_66
; %bb.35:                               ;   in Loop: Header=BB3_32 Depth=2
	s_and_b32 s5, s5, exec_lo
	s_cselect_b32 s72, s70, s69
	s_mov_b32 s73, 0
	s_branch .LBB3_37
.LBB3_36:                               ;   in Loop: Header=BB3_37 Depth=3
	s_or_b32 exec_lo, exec_lo, s6
	s_addk_co_i32 s73, 0x80
	s_wait_dscnt 0x0
	s_cmp_ge_i32 s73, s59
	s_barrier_signal -1
	s_barrier_wait -1
	s_cbranch_scc1 .LBB3_66
.LBB3_37:                               ;   Parent Loop BB3_4 Depth=1
                                        ;     Parent Loop BB3_32 Depth=2
                                        ; =>    This Loop Header: Depth=3
                                        ;         Child Loop BB3_40 Depth 4
                                        ;         Child Loop BB3_54 Depth 4
	;; [unrolled: 1-line block ×3, first 2 shown]
	v_add_nc_u32_e32 v2, s73, v0
	s_delay_alu instid0(VALU_DEP_1)
	v_cmp_gt_i32_e64 s5, s59, v2
	s_and_saveexec_b32 s74, s5
	s_cbranch_execz .LBB3_50
; %bb.38:                               ;   in Loop: Header=BB3_37 Depth=3
	v_lshl_add_u32 v2, v2, 1, s72
	s_and_not1_b32 vcc_lo, exec_lo, s4
	s_delay_alu instid0(VALU_DEP_1) | instskip(NEXT) | instid1(VALU_DEP_1)
	v_ashrrev_i32_e32 v3, 31, v2
	v_lshlrev_b64_e32 v[4:5], 2, v[2:3]
	s_delay_alu instid0(VALU_DEP_1)
	v_add_nc_u64_e32 v[2:3], s[40:41], v[4:5]
	v_add_nc_u64_e32 v[4:5], s[42:43], v[4:5]
	global_load_b64 v[10:11], v[2:3], off
	global_load_b32 v3, v15, s[52:53]
	global_load_b64 v[4:5], v[4:5], off
	s_wait_loadcnt 0x2
	v_add_f32_e32 v2, v10, v11
	s_wait_loadcnt 0x1
	s_delay_alu instid0(VALU_DEP_1) | instskip(NEXT) | instid1(VALU_DEP_1)
	v_dual_fmac_f32 v3, -0.5, v2 :: v_dual_mul_f32 v8, 0.5, v2
	v_cmp_ge_f32_e64 s6, s8, v3
	s_delay_alu instid0(VALU_DEP_1)
	v_cndmask_b32_e64 v2, 0, 1, s6
	s_cbranch_vccnz .LBB3_41
; %bb.39:                               ;   in Loop: Header=BB3_37 Depth=3
	v_cmp_gt_f32_e64 s7, v3, -s8
	s_mov_b64 s[56:57], s[50:51]
	s_mov_b32 s75, s71
	s_and_b32 s6, s6, s7
	s_delay_alu instid0(SALU_CYCLE_1)
	v_cndmask_b32_e64 v3, v3, -s8, s6
	s_mov_b64 s[6:7], s[54:55]
.LBB3_40:                               ;   Parent Loop BB3_4 Depth=1
                                        ;     Parent Loop BB3_32 Depth=2
                                        ;       Parent Loop BB3_37 Depth=3
                                        ; =>      This Inner Loop Header: Depth=4
	s_clause 0x1
	global_load_b32 v6, v15, s[6:7]
	global_load_b32 v7, v15, s[56:57]
	s_add_co_i32 s75, s75, -1
	s_wait_xcnt 0x0
	s_add_nc_u64 s[56:57], s[56:57], 4
	s_add_nc_u64 s[6:7], s[6:7], 4
	s_wait_loadcnt 0x1
	v_div_scale_f32 v9, null, v3, v3, v6
	v_div_scale_f32 v20, vcc_lo, v6, v3, v6
	s_wait_loadcnt 0x0
	v_sub_f32_e32 v7, v7, v8
	s_delay_alu instid0(VALU_DEP_3) | instskip(SKIP_1) | instid1(TRANS32_DEP_1)
	v_rcp_f32_e32 v18, v9
	v_nop
	v_fma_f32 v19, -v9, v18, 1.0
	s_delay_alu instid0(VALU_DEP_1) | instskip(NEXT) | instid1(VALU_DEP_1)
	v_fmac_f32_e32 v18, v19, v18
	v_mul_f32_e32 v19, v20, v18
	s_delay_alu instid0(VALU_DEP_1) | instskip(NEXT) | instid1(VALU_DEP_1)
	v_fma_f32 v21, -v9, v19, v20
	v_fmac_f32_e32 v19, v21, v18
	s_delay_alu instid0(VALU_DEP_1) | instskip(NEXT) | instid1(VALU_DEP_1)
	v_fma_f32 v9, -v9, v19, v20
	v_div_fmas_f32 v9, v9, v18, v19
	s_delay_alu instid0(VALU_DEP_1) | instskip(NEXT) | instid1(VALU_DEP_1)
	v_div_fixup_f32 v3, v9, v3, v6
	v_sub_f32_e32 v3, v7, v3
	s_delay_alu instid0(VALU_DEP_1)
	v_cmp_ge_f32_e32 vcc_lo, s8, v3
	v_cmp_gt_f32_e64 s76, v3, -s8
	v_add_co_ci_u32_e64 v2, null, 0, v2, vcc_lo
	s_and_b32 s76, vcc_lo, s76
	s_cmp_lg_u32 s75, 0
	v_cndmask_b32_e64 v3, v3, -s8, s76
	s_cbranch_scc1 .LBB3_40
.LBB3_41:                               ;   in Loop: Header=BB3_37 Depth=3
	s_wait_loadcnt 0x0
	s_delay_alu instid0(VALU_DEP_1) | instskip(SKIP_1) | instid1(VALU_DEP_1)
	v_max_i32_e32 v2, v2, v4
	s_mov_b32 s6, exec_lo
	v_min_i32_e32 v3, v2, v5
	s_delay_alu instid0(VALU_DEP_1)
	v_cmpx_ne_u32_e64 v3, v4
	s_xor_b32 s6, exec_lo, s6
	s_cbranch_execz .LBB3_47
; %bb.42:                               ;   in Loop: Header=BB3_37 Depth=3
	s_mov_b32 s7, exec_lo
	v_cmpx_le_i32_e64 v5, v2
	s_xor_b32 s7, exec_lo, s7
	s_cbranch_execz .LBB3_44
; %bb.43:                               ;   in Loop: Header=BB3_37 Depth=3
	v_dual_mov_b32 v11, v8 :: v_dual_mov_b32 v2, v4
                                        ; implicit-def: $vgpr8
	ds_store_b32 v1, v15
	ds_store_b64 v12, v[10:11]
	ds_store_b64 v14, v[2:3]
                                        ; implicit-def: $vgpr10_vgpr11
.LBB3_44:                               ;   in Loop: Header=BB3_37 Depth=3
	s_and_not1_saveexec_b32 s7, s7
	s_cbranch_execz .LBB3_46
; %bb.45:                               ;   in Loop: Header=BB3_37 Depth=3
	v_dual_mov_b32 v6, v10 :: v_dual_mov_b32 v7, v8
	v_dual_mov_b32 v9, v11 :: v_dual_mov_b32 v2, v4
	v_mov_b32_e32 v4, v3
	ds_store_b32 v1, v16
	ds_store_b128 v12, v[6:9]
	ds_store_b128 v14, v[2:5]
.LBB3_46:                               ;   in Loop: Header=BB3_37 Depth=3
	s_or_b32 exec_lo, exec_lo, s7
                                        ; implicit-def: $vgpr8
                                        ; implicit-def: $vgpr10_vgpr11
.LBB3_47:                               ;   in Loop: Header=BB3_37 Depth=3
	s_and_not1_saveexec_b32 s6, s6
	s_cbranch_execz .LBB3_49
; %bb.48:                               ;   in Loop: Header=BB3_37 Depth=3
	v_mov_b32_e32 v9, v11
	ds_store_b32 v1, v15
	ds_store_b64 v12, v[8:9]
	ds_store_b64 v14, v[4:5]
.LBB3_49:                               ;   in Loop: Header=BB3_37 Depth=3
	s_or_b32 exec_lo, exec_lo, s6
.LBB3_50:                               ;   in Loop: Header=BB3_37 Depth=3
	s_delay_alu instid0(SALU_CYCLE_1)
	s_or_b32 exec_lo, exec_lo, s74
	s_wait_dscnt 0x0
	s_barrier_signal -1
	s_barrier_wait -1
	s_and_saveexec_b32 s6, s5
	s_cbranch_execz .LBB3_64
; %bb.51:                               ;   in Loop: Header=BB3_37 Depth=3
	v_mov_b32_e32 v5, 0
	s_and_saveexec_b32 s5, s1
	s_cbranch_execz .LBB3_61
; %bb.52:                               ;   in Loop: Header=BB3_37 Depth=3
	v_dual_mov_b32 v5, 0 :: v_dual_mov_b32 v3, 0
	s_mov_b32 s56, -1
	s_and_saveexec_b32 s7, s2
	s_cbranch_execz .LBB3_56
; %bb.53:                               ;   in Loop: Header=BB3_37 Depth=3
	v_dual_mov_b32 v3, 0 :: v_dual_mov_b32 v2, 0
	v_dual_mov_b32 v5, 0 :: v_dual_mov_b32 v4, 0
	v_mov_b32_e32 v6, v13
	s_movk_i32 s57, 0x1000
	s_mov_b32 s56, 0
.LBB3_54:                               ;   Parent Loop BB3_4 Depth=1
                                        ;     Parent Loop BB3_32 Depth=2
                                        ;       Parent Loop BB3_37 Depth=3
                                        ; =>      This Inner Loop Header: Depth=4
	s_delay_alu instid0(VALU_DEP_1)
	v_dual_mov_b32 v7, s57 :: v_dual_add_nc_u32 v6, -4, v6
	s_add_co_i32 s57, s57, 16
	ds_load_b128 v[8:11], v7
	v_cmp_eq_u32_e32 vcc_lo, 0, v6
	s_or_b32 s56, vcc_lo, s56
	s_wait_dscnt 0x0
	v_dual_add_nc_u32 v3, v9, v3 :: v_dual_add_nc_u32 v2, v8, v2
	v_dual_add_nc_u32 v5, v11, v5 :: v_dual_add_nc_u32 v4, v10, v4
	s_and_not1_b32 exec_lo, exec_lo, s56
	s_cbranch_execnz .LBB3_54
; %bb.55:                               ;   in Loop: Header=BB3_37 Depth=3
	s_or_b32 exec_lo, exec_lo, s56
	s_delay_alu instid0(VALU_DEP_1) | instskip(SKIP_1) | instid1(VALU_DEP_1)
	v_add_nc_u32_e32 v3, v5, v3
	s_or_not1_b32 s56, s3, exec_lo
	v_add3_u32 v5, v4, v2, v3
	v_mov_b32_e32 v3, v13
.LBB3_56:                               ;   in Loop: Header=BB3_37 Depth=3
	s_or_b32 exec_lo, exec_lo, s7
	s_and_saveexec_b32 s7, s56
	s_cbranch_execz .LBB3_60
; %bb.57:                               ;   in Loop: Header=BB3_37 Depth=3
	s_delay_alu instid0(VALU_DEP_1)
	v_sub_nc_u32_e32 v2, v0, v3
	v_lshl_or_b32 v3, v3, 2, 0x1000
	s_mov_b32 s56, 0
.LBB3_58:                               ;   Parent Loop BB3_4 Depth=1
                                        ;     Parent Loop BB3_32 Depth=2
                                        ;       Parent Loop BB3_37 Depth=3
                                        ; =>      This Inner Loop Header: Depth=4
	ds_load_b32 v4, v3
	v_dual_add_nc_u32 v2, -1, v2 :: v_dual_add_nc_u32 v3, 4, v3
	s_delay_alu instid0(VALU_DEP_1)
	v_cmp_eq_u32_e32 vcc_lo, 0, v2
	s_or_b32 s56, vcc_lo, s56
	s_wait_dscnt 0x0
	v_add_nc_u32_e32 v5, v4, v5
	s_and_not1_b32 exec_lo, exec_lo, s56
	s_cbranch_execnz .LBB3_58
; %bb.59:                               ;   in Loop: Header=BB3_37 Depth=3
	s_or_b32 exec_lo, exec_lo, s56
.LBB3_60:                               ;   in Loop: Header=BB3_37 Depth=3
	s_delay_alu instid0(SALU_CYCLE_1)
	s_or_b32 exec_lo, exec_lo, s7
.LBB3_61:                               ;   in Loop: Header=BB3_37 Depth=3
	s_delay_alu instid0(SALU_CYCLE_1)
	s_or_b32 exec_lo, exec_lo, s5
	ds_load_b32 v2, v15 offset:4608
	ds_load_b64 v[8:9], v14
	ds_load_b32 v4, v1
	ds_load_b64 v[10:11], v12
	s_mov_b32 s5, exec_lo
	s_wait_dscnt 0x3
	v_add3_u32 v2, v5, v0, v2
	s_delay_alu instid0(VALU_DEP_1) | instskip(NEXT) | instid1(VALU_DEP_1)
	v_lshl_add_u32 v2, v2, 1, s60
	v_ashrrev_i32_e32 v3, 31, v2
	s_delay_alu instid0(VALU_DEP_1) | instskip(NEXT) | instid1(VALU_DEP_1)
	v_lshlrev_b64_e32 v[6:7], 2, v[2:3]
	v_add_nc_u64_e32 v[2:3], s[40:41], v[6:7]
	v_add_nc_u64_e32 v[6:7], s[42:43], v[6:7]
	s_wait_dscnt 0x0
	global_store_b64 v[2:3], v[10:11], off
	global_store_b64 v[6:7], v[8:9], off
	s_wait_xcnt 0x0
	v_cmpx_ne_u32_e32 0, v4
	s_cbranch_execz .LBB3_63
; %bb.62:                               ;   in Loop: Header=BB3_37 Depth=3
	ds_load_b64 v[8:9], v12 offset:8
	ds_load_b64 v[10:11], v14 offset:8
	s_wait_dscnt 0x1
	global_store_b64 v[2:3], v[8:9], off offset:8
	s_wait_dscnt 0x0
	global_store_b64 v[6:7], v[10:11], off offset:8
.LBB3_63:                               ;   in Loop: Header=BB3_37 Depth=3
	s_wait_xcnt 0x0
	s_or_b32 exec_lo, exec_lo, s5
.LBB3_64:                               ;   in Loop: Header=BB3_37 Depth=3
	s_delay_alu instid0(SALU_CYCLE_1)
	s_or_b32 exec_lo, exec_lo, s6
	s_sub_co_i32 s5, s59, s73
	s_wait_storecnt 0x0
	s_min_i32 s5, s5, 0x80
	s_barrier_signal -1
	s_add_co_i32 s6, s5, -1
	s_barrier_wait -1
	v_cmp_eq_u32_e32 vcc_lo, s6, v0
	s_and_saveexec_b32 s6, vcc_lo
	s_cbranch_execz .LBB3_36
; %bb.65:                               ;   in Loop: Header=BB3_37 Depth=3
	ds_load_b32 v2, v1
	ds_load_b32 v3, v15 offset:4608
	v_add_nc_u32_e32 v4, s5, v5
	s_wait_dscnt 0x0
	s_delay_alu instid0(VALU_DEP_1)
	v_add3_u32 v2, v4, v2, v3
	ds_store_b32 v15, v2 offset:4608
	s_branch .LBB3_36
.LBB3_66:                               ;   in Loop: Header=BB3_32 Depth=2
	ds_load_b32 v2, v15 offset:4608
	s_wait_dscnt 0x0
	v_readfirstlane_b32 s59, v2
	s_and_saveexec_b32 s5, s0
	s_cbranch_execz .LBB3_31
; %bb.67:                               ;   in Loop: Header=BB3_32 Depth=2
	ds_load_b64 v[2:3], v15
	s_wait_dscnt 0x0
	v_readfirstlane_b32 s6, v2
	v_readfirstlane_b32 s7, v3
	s_and_b32 s56, s6, 0x7fffffff
	s_and_b32 s57, s7, 0x7fffffff
	s_delay_alu instid0(SALU_CYCLE_1) | instskip(SKIP_3) | instid1(SALU_CYCLE_1)
	s_cmp_lt_f32 s56, s57
	s_cselect_b32 s56, s7, s6
	s_sub_f32 s6, s7, s6
	s_bitset0_b32 s56, 31
	s_mul_f32 s56, s63, s56
	s_delay_alu instid0(SALU_CYCLE_3) | instskip(SKIP_1) | instid1(SALU_CYCLE_1)
	s_cmp_lt_f32 s61, s56
	s_cselect_b32 s7, s56, s61
	s_cmp_nlt_f32 s6, s7
	s_cbranch_scc1 .LBB3_31
; %bb.68:                               ;   in Loop: Header=BB3_32 Depth=2
	ds_store_b8 v15, v16 offset:4613
	s_branch .LBB3_31
.LBB3_69:                               ;   in Loop: Header=BB3_4 Depth=1
                                        ; implicit-def: $sgpr58
                                        ; implicit-def: $sgpr60
                                        ; implicit-def: $sgpr35
                                        ; implicit-def: $sgpr59
                                        ; implicit-def: $vgpr5
	s_cbranch_execz .LBB3_3
	s_branch .LBB3_88
.LBB3_70:                               ;   in Loop: Header=BB3_4 Depth=1
	s_mov_b32 s60, s66
.LBB3_71:                               ;   in Loop: Header=BB3_4 Depth=1
	s_and_b32 s4, s0, s5
	s_delay_alu instid0(SALU_CYCLE_1)
	s_and_saveexec_b32 s57, s4
	s_cbranch_execz .LBB3_87
; %bb.72:                               ;   in Loop: Header=BB3_4 Depth=1
	s_cmp_lt_i32 s59, 1
	s_cbranch_scc1 .LBB3_84
; %bb.73:                               ;   in Loop: Header=BB3_4 Depth=1
	s_add_co_i32 s4, s34, 1
	s_not_b32 s5, s34
	s_and_b32 s6, s56, exec_lo
	s_cselect_b32 s4, s4, s5
	s_mov_b32 s61, 0
	s_mov_b32 s5, s4
	;; [unrolled: 1-line block ×5, first 2 shown]
	s_branch .LBB3_75
.LBB3_74:                               ;   in Loop: Header=BB3_75 Depth=2
	s_add_co_i32 s61, s61, 1
	s_delay_alu instid0(SALU_CYCLE_1)
	s_cmp_eq_u32 s61, s59
	s_cbranch_scc1 .LBB3_83
.LBB3_75:                               ;   Parent Loop BB3_4 Depth=1
                                        ; =>  This Loop Header: Depth=2
                                        ;       Child Loop BB3_78 Depth 3
                                        ;       Child Loop BB3_82 Depth 3
	s_lshl_b32 s51, s61, 1
	s_wait_xcnt 0x0
	s_add_co_i32 s52, s51, s60
	s_delay_alu instid0(SALU_CYCLE_1) | instskip(NEXT) | instid1(SALU_CYCLE_1)
	s_ashr_i32 s53, s52, 31
	s_lshl_b64 s[52:53], s[52:53], 2
	s_wait_xcnt 0x0
	s_add_nc_u64 s[54:55], s[42:43], s[52:53]
	global_load_b64 v[2:3], v15, s[54:55]
	s_wait_loadcnt 0x0
	v_readfirstlane_b32 s51, v2
	v_readfirstlane_b32 s69, v3
	s_sub_co_i32 s70, s69, s51
	s_delay_alu instid0(SALU_CYCLE_1)
	s_cmp_lt_i32 s70, 1
	s_cbranch_scc1 .LBB3_74
; %bb.76:                               ;   in Loop: Header=BB3_75 Depth=2
	s_add_nc_u64 s[52:53], s[40:41], s[52:53]
	s_cmp_lt_u32 s70, 16
	global_load_b64 v[2:3], v15, s[52:53]
	s_wait_loadcnt 0x0
	v_add_f32_e32 v2, v2, v3
	s_delay_alu instid0(VALU_DEP_1)
	v_mul_f32_e32 v2, 0.5, v2
	s_cbranch_scc1 .LBB3_80
; %bb.77:                               ;   in Loop: Header=BB3_75 Depth=2
	s_and_b32 s71, s70, 0x7ffffff0
	s_wait_xcnt 0x0
	s_add_co_i32 s52, s50, s46
	s_mov_b32 s51, s71
.LBB3_78:                               ;   Parent Loop BB3_4 Depth=1
                                        ;     Parent Loop BB3_75 Depth=2
                                        ; =>    This Inner Loop Header: Depth=3
	s_wait_xcnt 0x0
	v_mov_b64_e32 v[8:9], s[6:7]
	v_mov_b64_e32 v[6:7], s[4:5]
	s_ashr_i32 s53, s52, 31
	v_dual_mov_b32 v3, v2 :: v_dual_mov_b32 v4, v2
	v_mov_b32_e32 v5, v2
	s_lshl_b64 s[54:55], s[52:53], 2
	s_add_co_i32 s51, s51, -16
	s_add_co_i32 s52, s52, 16
	s_add_nc_u64 s[72:73], s[16:17], s[54:55]
	s_add_nc_u64 s[54:55], s[10:11], s[54:55]
	s_cmp_lg_u32 s51, 0
	s_clause 0x7
	global_store_b128 v15, v[2:5], s[72:73]
	global_store_b128 v15, v[2:5], s[72:73] offset:16
	global_store_b128 v15, v[2:5], s[72:73] offset:32
	;; [unrolled: 1-line block ×3, first 2 shown]
	global_store_b128 v15, v[6:9], s[54:55]
	global_store_b128 v15, v[6:9], s[54:55] offset:16
	global_store_b128 v15, v[6:9], s[54:55] offset:32
	;; [unrolled: 1-line block ×3, first 2 shown]
	s_cbranch_scc1 .LBB3_78
; %bb.79:                               ;   in Loop: Header=BB3_75 Depth=2
	s_add_co_i32 s50, s50, s71
	s_cmp_lg_u32 s70, s71
	s_cselect_b32 s51, -1, 0
	s_delay_alu instid0(SALU_CYCLE_1)
	s_and_b32 vcc_lo, exec_lo, s51
	s_cbranch_vccz .LBB3_74
	s_branch .LBB3_81
.LBB3_80:                               ;   in Loop: Header=BB3_75 Depth=2
	s_mov_b32 s71, 0
	s_cbranch_execz .LBB3_74
.LBB3_81:                               ;   in Loop: Header=BB3_75 Depth=2
	s_ashr_i32 s51, s50, 31
	s_wait_xcnt 0x0
	s_add_nc_u64 s[52:53], s[46:47], s[50:51]
	s_wait_xcnt 0x0
	s_lshl_b64 s[54:55], s[52:53], 2
	s_delay_alu instid0(SALU_CYCLE_1)
	s_add_nc_u64 s[52:53], s[16:17], s[54:55]
	s_add_nc_u64 s[54:55], s[10:11], s[54:55]
.LBB3_82:                               ;   Parent Loop BB3_4 Depth=1
                                        ;     Parent Loop BB3_75 Depth=2
                                        ; =>    This Inner Loop Header: Depth=3
	v_mov_b32_e32 v3, s4
	s_add_co_i32 s71, s71, 1
	s_add_co_i32 s50, s50, 1
	global_store_b32 v15, v2, s[52:53]
	s_wait_xcnt 0x0
	s_add_nc_u64 s[52:53], s[52:53], 4
	s_cmp_ge_i32 s71, s70
	global_store_b32 v15, v3, s[54:55]
	s_wait_xcnt 0x0
	s_add_nc_u64 s[54:55], s[54:55], 4
	s_cbranch_scc0 .LBB3_82
	s_branch .LBB3_74
.LBB3_83:                               ;   in Loop: Header=BB3_4 Depth=1
	s_wait_xcnt 0x4
	v_mov_b32_e32 v5, s69
.LBB3_84:                               ;   in Loop: Header=BB3_4 Depth=1
	s_xor_b32 s4, s56, -1
; %bb.85:                               ;   in Loop: Header=BB3_4 Depth=1
	s_delay_alu instid0(SALU_CYCLE_1)
	s_and_b32 vcc_lo, exec_lo, s4
	s_cbranch_vccz .LBB3_87
; %bb.86:                               ;   in Loop: Header=BB3_4 Depth=1
	global_store_b32 v15, v16, s[12:13]
.LBB3_87:                               ;   in Loop: Header=BB3_4 Depth=1
	s_wait_xcnt 0x0
	s_or_b32 exec_lo, exec_lo, s57
	s_branch .LBB3_3
.LBB3_88:                               ;   in Loop: Header=BB3_4 Depth=1
	s_and_saveexec_b32 s4, s0
	s_cbranch_execz .LBB3_2
; %bb.89:                               ;   in Loop: Header=BB3_4 Depth=1
	v_mov_b32_e32 v2, s46
	s_and_not1_b32 vcc_lo, exec_lo, s62
	s_mov_b32 s5, -1
	global_load_b32 v2, v2, s[26:27] scale_offset
	s_cbranch_vccnz .LBB3_94
; %bb.90:                               ;   in Loop: Header=BB3_4 Depth=1
	global_load_b32 v4, v15, s[18:19]
	s_wait_loadcnt 0x1
	v_subrev_f32_e32 v3, s8, v2
	s_wait_loadcnt 0x0
	s_delay_alu instid0(VALU_DEP_1)
	v_cmp_lt_f32_e32 vcc_lo, v4, v3
	v_cmp_nlt_f32_e64 s6, v4, v3
	s_cbranch_vccz .LBB3_92
; %bb.91:                               ;   in Loop: Header=BB3_4 Depth=1
	global_load_b32 v4, v15, s[18:19] offset:4
	s_wait_loadcnt 0x0
	v_cmp_nge_f32_e64 s6, v4, v3
	s_and_not1_b32 vcc_lo, exec_lo, s6
	s_cbranch_vccz .LBB3_93
	s_branch .LBB3_94
.LBB3_92:                               ;   in Loop: Header=BB3_4 Depth=1
	s_mov_b32 s5, 0
	s_and_not1_b32 vcc_lo, exec_lo, s6
	s_cbranch_vccnz .LBB3_94
.LBB3_93:                               ;   in Loop: Header=BB3_4 Depth=1
	s_add_nc_u64 s[6:7], s[22:23], s[48:49]
	s_mov_b32 s5, 0
	global_store_b32 v15, v15, s[6:7]
.LBB3_94:                               ;   in Loop: Header=BB3_4 Depth=1
	s_and_b32 vcc_lo, exec_lo, s5
	s_cbranch_vccz .LBB3_2
; %bb.95:                               ;   in Loop: Header=BB3_4 Depth=1
	s_ashr_i32 s47, s46, 31
	s_add_co_i32 s5, s34, 1
	s_wait_xcnt 0x0
	s_lshl_b64 s[6:7], s[46:47], 2
	v_mov_b32_e32 v3, s5
	s_add_nc_u64 s[46:47], s[16:17], s[6:7]
	s_add_nc_u64 s[48:49], s[22:23], s[48:49]
	;; [unrolled: 1-line block ×3, first 2 shown]
	s_wait_loadcnt 0x0
	s_clause 0x2
	global_store_b32 v15, v2, s[46:47]
	global_store_b32 v15, v16, s[48:49]
	;; [unrolled: 1-line block ×3, first 2 shown]
	s_branch .LBB3_2
.LBB3_96:
	s_endpgm
	.section	.rodata,"a",@progbits
	.p2align	6, 0x0
	.amdhsa_kernel _ZN9rocsolver6v33100L22stebz_bisection_kernelIfPfEEv15rocblas_erange_iT_T0_iiS5_iiPiPS4_lS6_lS6_lS6_S6_S7_S7_S7_S7_S6_S4_S4_
		.amdhsa_group_segment_fixed_size 4616
		.amdhsa_private_segment_fixed_size 0
		.amdhsa_kernarg_size 168
		.amdhsa_user_sgpr_count 2
		.amdhsa_user_sgpr_dispatch_ptr 0
		.amdhsa_user_sgpr_queue_ptr 0
		.amdhsa_user_sgpr_kernarg_segment_ptr 1
		.amdhsa_user_sgpr_dispatch_id 0
		.amdhsa_user_sgpr_kernarg_preload_length 0
		.amdhsa_user_sgpr_kernarg_preload_offset 0
		.amdhsa_user_sgpr_private_segment_size 0
		.amdhsa_wavefront_size32 1
		.amdhsa_uses_dynamic_stack 0
		.amdhsa_enable_private_segment 0
		.amdhsa_system_sgpr_workgroup_id_x 1
		.amdhsa_system_sgpr_workgroup_id_y 1
		.amdhsa_system_sgpr_workgroup_id_z 0
		.amdhsa_system_sgpr_workgroup_info 0
		.amdhsa_system_vgpr_workitem_id 0
		.amdhsa_next_free_vgpr 22
		.amdhsa_next_free_sgpr 77
		.amdhsa_named_barrier_count 0
		.amdhsa_reserve_vcc 1
		.amdhsa_float_round_mode_32 0
		.amdhsa_float_round_mode_16_64 0
		.amdhsa_float_denorm_mode_32 3
		.amdhsa_float_denorm_mode_16_64 3
		.amdhsa_fp16_overflow 0
		.amdhsa_memory_ordered 1
		.amdhsa_forward_progress 1
		.amdhsa_inst_pref_size 37
		.amdhsa_round_robin_scheduling 0
		.amdhsa_exception_fp_ieee_invalid_op 0
		.amdhsa_exception_fp_denorm_src 0
		.amdhsa_exception_fp_ieee_div_zero 0
		.amdhsa_exception_fp_ieee_overflow 0
		.amdhsa_exception_fp_ieee_underflow 0
		.amdhsa_exception_fp_ieee_inexact 0
		.amdhsa_exception_int_div_zero 0
	.end_amdhsa_kernel
	.section	.text._ZN9rocsolver6v33100L22stebz_bisection_kernelIfPfEEv15rocblas_erange_iT_T0_iiS5_iiPiPS4_lS6_lS6_lS6_S6_S7_S7_S7_S7_S6_S4_S4_,"axG",@progbits,_ZN9rocsolver6v33100L22stebz_bisection_kernelIfPfEEv15rocblas_erange_iT_T0_iiS5_iiPiPS4_lS6_lS6_lS6_S6_S7_S7_S7_S7_S6_S4_S4_,comdat
.Lfunc_end3:
	.size	_ZN9rocsolver6v33100L22stebz_bisection_kernelIfPfEEv15rocblas_erange_iT_T0_iiS5_iiPiPS4_lS6_lS6_lS6_S6_S7_S7_S7_S7_S6_S4_S4_, .Lfunc_end3-_ZN9rocsolver6v33100L22stebz_bisection_kernelIfPfEEv15rocblas_erange_iT_T0_iiS5_iiPiPS4_lS6_lS6_lS6_S6_S7_S7_S7_S7_S6_S4_S4_
                                        ; -- End function
	.set _ZN9rocsolver6v33100L22stebz_bisection_kernelIfPfEEv15rocblas_erange_iT_T0_iiS5_iiPiPS4_lS6_lS6_lS6_S6_S7_S7_S7_S7_S6_S4_S4_.num_vgpr, 22
	.set _ZN9rocsolver6v33100L22stebz_bisection_kernelIfPfEEv15rocblas_erange_iT_T0_iiS5_iiPiPS4_lS6_lS6_lS6_S6_S7_S7_S7_S7_S6_S4_S4_.num_agpr, 0
	.set _ZN9rocsolver6v33100L22stebz_bisection_kernelIfPfEEv15rocblas_erange_iT_T0_iiS5_iiPiPS4_lS6_lS6_lS6_S6_S7_S7_S7_S7_S6_S4_S4_.numbered_sgpr, 77
	.set _ZN9rocsolver6v33100L22stebz_bisection_kernelIfPfEEv15rocblas_erange_iT_T0_iiS5_iiPiPS4_lS6_lS6_lS6_S6_S7_S7_S7_S7_S6_S4_S4_.num_named_barrier, 0
	.set _ZN9rocsolver6v33100L22stebz_bisection_kernelIfPfEEv15rocblas_erange_iT_T0_iiS5_iiPiPS4_lS6_lS6_lS6_S6_S7_S7_S7_S7_S6_S4_S4_.private_seg_size, 0
	.set _ZN9rocsolver6v33100L22stebz_bisection_kernelIfPfEEv15rocblas_erange_iT_T0_iiS5_iiPiPS4_lS6_lS6_lS6_S6_S7_S7_S7_S7_S6_S4_S4_.uses_vcc, 1
	.set _ZN9rocsolver6v33100L22stebz_bisection_kernelIfPfEEv15rocblas_erange_iT_T0_iiS5_iiPiPS4_lS6_lS6_lS6_S6_S7_S7_S7_S7_S6_S4_S4_.uses_flat_scratch, 0
	.set _ZN9rocsolver6v33100L22stebz_bisection_kernelIfPfEEv15rocblas_erange_iT_T0_iiS5_iiPiPS4_lS6_lS6_lS6_S6_S7_S7_S7_S7_S6_S4_S4_.has_dyn_sized_stack, 0
	.set _ZN9rocsolver6v33100L22stebz_bisection_kernelIfPfEEv15rocblas_erange_iT_T0_iiS5_iiPiPS4_lS6_lS6_lS6_S6_S7_S7_S7_S7_S6_S4_S4_.has_recursion, 0
	.set _ZN9rocsolver6v33100L22stebz_bisection_kernelIfPfEEv15rocblas_erange_iT_T0_iiS5_iiPiPS4_lS6_lS6_lS6_S6_S7_S7_S7_S7_S6_S4_S4_.has_indirect_call, 0
	.section	.AMDGPU.csdata,"",@progbits
; Kernel info:
; codeLenInByte = 4692
; TotalNumSgprs: 79
; NumVgprs: 22
; ScratchSize: 0
; MemoryBound: 0
; FloatMode: 240
; IeeeMode: 1
; LDSByteSize: 4616 bytes/workgroup (compile time only)
; SGPRBlocks: 0
; VGPRBlocks: 1
; NumSGPRsForWavesPerEU: 79
; NumVGPRsForWavesPerEU: 22
; NamedBarCnt: 0
; Occupancy: 16
; WaveLimiterHint : 1
; COMPUTE_PGM_RSRC2:SCRATCH_EN: 0
; COMPUTE_PGM_RSRC2:USER_SGPR: 2
; COMPUTE_PGM_RSRC2:TRAP_HANDLER: 0
; COMPUTE_PGM_RSRC2:TGID_X_EN: 1
; COMPUTE_PGM_RSRC2:TGID_Y_EN: 1
; COMPUTE_PGM_RSRC2:TGID_Z_EN: 0
; COMPUTE_PGM_RSRC2:TIDIG_COMP_CNT: 0
	.section	.text._ZN9rocsolver6v33100L22stebz_synthesis_kernelIfPfEEv15rocblas_erange_15rocblas_eorder_iiiT0_iiPiS6_PT_lS6_lS6_liS6_S8_S8_S8_S8_S6_S7_,"axG",@progbits,_ZN9rocsolver6v33100L22stebz_synthesis_kernelIfPfEEv15rocblas_erange_15rocblas_eorder_iiiT0_iiPiS6_PT_lS6_lS6_liS6_S8_S8_S8_S8_S6_S7_,comdat
	.globl	_ZN9rocsolver6v33100L22stebz_synthesis_kernelIfPfEEv15rocblas_erange_15rocblas_eorder_iiiT0_iiPiS6_PT_lS6_lS6_liS6_S8_S8_S8_S8_S6_S7_ ; -- Begin function _ZN9rocsolver6v33100L22stebz_synthesis_kernelIfPfEEv15rocblas_erange_15rocblas_eorder_iiiT0_iiPiS6_PT_lS6_lS6_liS6_S8_S8_S8_S8_S6_S7_
	.p2align	8
	.type	_ZN9rocsolver6v33100L22stebz_synthesis_kernelIfPfEEv15rocblas_erange_15rocblas_eorder_iiiT0_iiPiS6_PT_lS6_lS6_liS6_S8_S8_S8_S8_S6_S7_,@function
_ZN9rocsolver6v33100L22stebz_synthesis_kernelIfPfEEv15rocblas_erange_15rocblas_eorder_iiiT0_iiPiS6_PT_lS6_lS6_liS6_S8_S8_S8_S8_S6_S7_: ; @_ZN9rocsolver6v33100L22stebz_synthesis_kernelIfPfEEv15rocblas_erange_15rocblas_eorder_iiiT0_iiPiS6_PT_lS6_lS6_liS6_S8_S8_S8_S8_S6_S7_
; %bb.0:
	s_clause 0x1
	s_load_b32 s2, s[0:1], 0xb4
	s_load_b32 s3, s[0:1], 0x68
	s_bfe_u32 s4, ttmp6, 0x4000c
	s_and_b32 s5, ttmp6, 15
	s_add_co_i32 s4, s4, 1
	s_getreg_b32 s6, hwreg(HW_REG_IB_STS2, 6, 4)
	s_mul_i32 s4, ttmp9, s4
	s_delay_alu instid0(SALU_CYCLE_1) | instskip(SKIP_4) | instid1(SALU_CYCLE_1)
	s_add_co_i32 s5, s5, s4
	s_wait_kmcnt 0x0
	s_and_b32 s2, s2, 0xffff
	s_cmp_eq_u32 s6, 0
	s_cselect_b32 s4, ttmp9, s5
	v_mad_u32 v4, s4, s2, v0
	s_mov_b32 s2, exec_lo
	s_delay_alu instid0(VALU_DEP_1)
	v_cmpx_gt_i32_e64 s3, v4
	s_cbranch_execz .LBB4_61
; %bb.1:
	s_load_b512 s[4:19], s[0:1], 0x28
	v_ashrrev_i32_e32 v5, 31, v4
	s_load_b128 s[28:31], s[0:1], 0x0
	s_wait_kmcnt 0x0
	global_load_b32 v39, v4, s[6:7] scale_offset
	v_mul_u64_e32 v[6:7], s[10:11], v[4:5]
	v_mul_u64_e32 v[16:17], s[14:15], v[4:5]
	;; [unrolled: 1-line block ×3, first 2 shown]
	s_clause 0x1
	s_load_b256 s[20:27], s[0:1], 0x70
	s_load_b32 s33, s[0:1], 0x10
	v_mul_lo_u32 v0, v4, s30
	s_cmp_eq_u32 s28, 0xe9
	s_delay_alu instid0(VALU_DEP_1) | instskip(SKIP_1) | instid1(VALU_DEP_1)
	v_ashrrev_i32_e32 v1, 31, v0
	s_wait_kmcnt 0x0
	v_lshl_add_u64 v[12:13], v[0:1], 2, s[20:21]
	v_lshl_add_u64 v[0:1], v[6:7], 2, s[8:9]
	;; [unrolled: 1-line block ×4, first 2 shown]
	s_wait_loadcnt 0x0
	v_cmp_gt_i32_e64 s2, 1, v39
	v_cmp_lt_i32_e32 vcc_lo, 0, v39
	s_cbranch_scc1 .LBB4_12
; %bb.2:
	v_mov_b32_e32 v10, 0
	s_and_saveexec_b32 s3, vcc_lo
	s_cbranch_execz .LBB4_14
; %bb.3:
	v_mov_b32_e32 v10, 0
	s_mov_b32 s7, 0
	s_mov_b32 s14, 0
	;; [unrolled: 1-line block ×3, first 2 shown]
	s_branch .LBB4_5
.LBB4_4:                                ;   in Loop: Header=BB4_5 Depth=1
	s_or_b32 exec_lo, exec_lo, s10
	s_add_co_i32 s6, s6, 1
	s_delay_alu instid0(SALU_CYCLE_1) | instskip(SKIP_1) | instid1(SALU_CYCLE_1)
	v_cmp_eq_u32_e32 vcc_lo, s6, v39
	s_or_b32 s14, vcc_lo, s14
	s_and_not1_b32 exec_lo, exec_lo, s14
	s_cbranch_execz .LBB4_13
.LBB4_5:                                ; =>This Loop Header: Depth=1
                                        ;     Child Loop BB4_10 Depth 2
	s_cmp_eq_u32 s6, 0
	s_cbranch_scc1 .LBB4_7
; %bb.6:                                ;   in Loop: Header=BB4_5 Depth=1
	v_lshl_add_u64 v[8:9], s[6:7], 2, v[14:15]
	s_mov_b64 s[10:11], s[6:7]
	global_load_b32 v18, v[8:9], off offset:-4
	s_branch .LBB4_8
.LBB4_7:                                ;   in Loop: Header=BB4_5 Depth=1
	v_mov_b32_e32 v18, 0
	s_mov_b64 s[10:11], 0
.LBB4_8:                                ;   in Loop: Header=BB4_5 Depth=1
	s_wait_xcnt 0x0
	v_lshl_add_u64 v[8:9], s[10:11], 2, v[12:13]
	s_mov_b32 s10, exec_lo
	global_load_b32 v11, v[8:9], off
	s_wait_loadcnt 0x0
	s_wait_xcnt 0x0
	v_cmpx_lt_i32_e32 0, v11
	s_cbranch_execz .LBB4_4
; %bb.9:                                ;   in Loop: Header=BB4_5 Depth=1
	v_ashrrev_i32_e32 v19, 31, v18
	v_ashrrev_i32_e32 v11, 31, v10
	v_mov_b64_e32 v[22:23], v[2:3]
	v_mov_b64_e32 v[24:25], v[0:1]
	s_mov_b32 s11, 0
	v_lshlrev_b64_e32 v[18:19], 2, v[18:19]
	v_lshlrev_b64_e32 v[20:21], 2, v[10:11]
	s_mov_b32 s15, 0
.LBB4_10:                               ;   Parent Loop BB4_5 Depth=1
                                        ; =>  This Inner Loop Header: Depth=2
	s_delay_alu instid0(VALU_DEP_2) | instskip(NEXT) | instid1(VALU_DEP_4)
	v_add_nc_u64_e32 v[26:27], v[22:23], v[18:19]
	v_add_nc_u64_e32 v[28:29], v[24:25], v[18:19]
	s_add_co_i32 s15, s15, 1
	global_load_b32 v11, v[26:27], off
	s_wait_xcnt 0x0
	v_add_nc_u64_e32 v[26:27], v[22:23], v[20:21]
	v_add_nc_u64_e32 v[22:23], 4, v[22:23]
	s_wait_loadcnt 0x0
	global_store_b32 v[26:27], v11, off
	global_load_b32 v11, v[8:9], off
	global_load_b32 v30, v[28:29], off
	v_add_nc_u64_e32 v[26:27], v[24:25], v[20:21]
	v_add_nc_u64_e32 v[24:25], 4, v[24:25]
	s_wait_loadcnt 0x1
	v_cmp_ge_i32_e32 vcc_lo, s15, v11
	v_add_nc_u32_e32 v11, s15, v10
	s_wait_loadcnt 0x0
	global_store_b32 v[26:27], v30, off
	s_or_b32 s11, vcc_lo, s11
	s_wait_xcnt 0x0
	s_and_not1_b32 exec_lo, exec_lo, s11
	s_cbranch_execnz .LBB4_10
; %bb.11:                               ;   in Loop: Header=BB4_5 Depth=1
	s_or_b32 exec_lo, exec_lo, s11
	v_mov_b32_e32 v10, v11
	s_branch .LBB4_4
.LBB4_12:
                                        ; implicit-def: $vgpr10
	s_branch .LBB4_15
.LBB4_13:
	s_or_b32 exec_lo, exec_lo, s14
.LBB4_14:
	s_delay_alu instid0(SALU_CYCLE_1)
	s_or_b32 exec_lo, exec_lo, s3
	s_cbranch_execnz .LBB4_53
.LBB4_15:
	v_lshl_add_u64 v[8:9], v[4:5], 2, s[22:23]
	v_lshlrev_b32_e32 v18, 1, v4
	s_load_b128 s[16:19], s[0:1], 0x90
                                        ; implicit-def: $sgpr6_sgpr7
	global_load_b32 v38, v[8:9], off
	v_mul_lo_u32 v10, v18, s30
	s_delay_alu instid0(VALU_DEP_1) | instskip(SKIP_2) | instid1(SALU_CYCLE_1)
	v_ashrrev_i32_e32 v11, 31, v10
	s_wait_xcnt 0x0
	s_and_saveexec_b32 s3, s2
	s_xor_b32 s2, exec_lo, s3
; %bb.16:
	s_ashr_i32 s7, s30, 31
	s_mov_b32 s6, s30
                                        ; implicit-def: $vgpr39
                                        ; implicit-def: $vgpr12_vgpr13
                                        ; implicit-def: $vgpr14_vgpr15
                                        ; implicit-def: $vgpr16_vgpr17
; %bb.17:
	s_or_saveexec_b32 s20, s2
	v_lshlrev_b64_e32 v[20:21], 2, v[10:11]
	v_mov_b64_e32 v[22:23], s[6:7]
	v_mov_b32_e32 v8, 0
	s_xor_b32 exec_lo, exec_lo, s20
	s_cbranch_execz .LBB4_28
; %bb.18:
	s_wait_kmcnt 0x0
	s_delay_alu instid0(VALU_DEP_3)
	v_add_nc_u64_e32 v[24:25], s[16:17], v[20:21]
	v_add_nc_u64_e32 v[26:27], s[18:19], v[20:21]
	v_lshl_add_u64 v[22:23], v[6:7], 2, s[8:9]
	v_lshl_add_u64 v[16:17], v[16:17], 2, s[12:13]
	v_mov_b32_e32 v8, 0
	s_ashr_i32 s3, s30, 31
	s_mov_b32 s2, s30
	s_mov_b32 s11, 0
	s_lshl_b64 s[6:7], s[2:3], 2
	s_mov_b32 s21, 0
	s_mov_b32 s10, s11
	s_branch .LBB4_20
.LBB4_19:                               ;   in Loop: Header=BB4_20 Depth=1
	s_or_b32 exec_lo, exec_lo, s14
	s_add_co_i32 s10, s10, 1
	s_delay_alu instid0(SALU_CYCLE_1) | instskip(SKIP_1) | instid1(SALU_CYCLE_1)
	v_cmp_eq_u32_e32 vcc_lo, s10, v39
	s_or_b32 s21, vcc_lo, s21
	s_and_not1_b32 exec_lo, exec_lo, s21
	s_cbranch_execz .LBB4_27
.LBB4_20:                               ; =>This Loop Header: Depth=1
                                        ;     Child Loop BB4_25 Depth 2
	s_cmp_eq_u32 s10, 0
	s_cbranch_scc1 .LBB4_22
; %bb.21:                               ;   in Loop: Header=BB4_20 Depth=1
	v_lshl_add_u64 v[28:29], s[10:11], 2, v[14:15]
	s_mov_b64 s[14:15], s[10:11]
	global_load_b32 v30, v[28:29], off offset:-4
	s_branch .LBB4_23
.LBB4_22:                               ;   in Loop: Header=BB4_20 Depth=1
	v_mov_b32_e32 v30, 0
	s_mov_b64 s[14:15], 0
.LBB4_23:                               ;   in Loop: Header=BB4_20 Depth=1
	s_wait_xcnt 0x0
	v_lshl_add_u64 v[28:29], s[14:15], 2, v[12:13]
	s_mov_b32 s14, exec_lo
	global_load_b32 v9, v[28:29], off
	s_wait_loadcnt 0x0
	v_cmpx_lt_i32_e32 0, v9
	s_cbranch_execz .LBB4_19
; %bb.24:                               ;   in Loop: Header=BB4_20 Depth=1
	v_dual_ashrrev_i32 v31, 31, v30 :: v_dual_ashrrev_i32 v9, 31, v8
	s_mov_b32 s15, 0
	s_mov_b32 s22, 0
	s_delay_alu instid0(VALU_DEP_1) | instskip(NEXT) | instid1(VALU_DEP_2)
	v_lshlrev_b64_e32 v[32:33], 2, v[30:31]
	v_lshlrev_b64_e32 v[36:37], 2, v[8:9]
	s_delay_alu instid0(VALU_DEP_2) | instskip(SKIP_1) | instid1(VALU_DEP_3)
	v_add_nc_u64_e32 v[30:31], v[22:23], v[32:33]
	v_add_nc_u64_e32 v[32:33], v[16:17], v[32:33]
	;; [unrolled: 1-line block ×4, first 2 shown]
.LBB4_25:                               ;   Parent Loop BB4_20 Depth=1
                                        ; =>  This Inner Loop Header: Depth=2
	global_load_b32 v9, v[32:33], off
	s_add_co_i32 s22, s22, 1
	v_add_nc_u64_e32 v[40:41], s[6:7], v[34:35]
	s_wait_xcnt 0x0
	v_add_nc_u64_e32 v[32:33], 4, v[32:33]
	s_wait_loadcnt 0x0
	global_store_b32 v[36:37], v9, off
	global_load_b32 v9, v[28:29], off
	global_load_b32 v19, v[30:31], off
	s_wait_xcnt 0x0
	v_add_nc_u64_e32 v[30:31], 4, v[30:31]
	v_add_nc_u64_e32 v[36:37], 4, v[36:37]
	s_wait_loadcnt 0x1
	v_cmp_ge_i32_e32 vcc_lo, s22, v9
	s_wait_loadcnt 0x0
	global_store_b32 v[34:35], v19, off
	s_wait_xcnt 0x0
	v_add_nc_u64_e32 v[34:35], 4, v[34:35]
	v_add_nc_u32_e32 v9, s22, v8
	global_store_b32 v[40:41], v19, off
	s_or_b32 s15, vcc_lo, s15
	s_wait_xcnt 0x0
	s_and_not1_b32 exec_lo, exec_lo, s15
	s_cbranch_execnz .LBB4_25
; %bb.26:                               ;   in Loop: Header=BB4_20 Depth=1
	s_or_b32 exec_lo, exec_lo, s15
	v_mov_b32_e32 v8, v9
	s_branch .LBB4_19
.LBB4_27:
	s_or_b32 exec_lo, exec_lo, s21
	v_mov_b64_e32 v[22:23], s[2:3]
.LBB4_28:
	s_or_b32 exec_lo, exec_lo, s20
; %bb.29:
	s_wait_kmcnt 0x0
	v_add_nc_u64_e32 v[12:13], s[16:17], v[20:21]
	v_add_nc_u64_e32 v[14:15], s[18:19], v[20:21]
	s_mov_b32 s2, 1
	s_mov_b32 s6, exec_lo
	s_delay_alu instid0(VALU_DEP_2)
	v_lshl_add_u64 v[16:17], v[22:23], 2, v[12:13]
	v_cmpx_lt_i32_e32 1, v8
	s_cbranch_execz .LBB4_37
; %bb.30:
	v_lshlrev_b64_e32 v[20:21], 2, v[22:23]
	s_cmp_lg_u64 s[18:19], 0
	s_mov_b32 s10, 0
	s_cselect_b32 s7, -1, 0
	s_delay_alu instid0(VALU_DEP_1) | instskip(NEXT) | instid1(VALU_DEP_1)
	v_lshl_add_u64 v[10:11], v[10:11], 2, v[20:21]
	v_add_nc_u64_e32 v[22:23], s[16:17], v[10:11]
	v_add_nc_u64_e32 v[10:11], v[14:15], v[20:21]
	s_delay_alu instid0(VALU_DEP_2)
	v_add_nc_u64_e32 v[20:21], 4, v[22:23]
	s_branch .LBB4_32
.LBB4_31:                               ;   in Loop: Header=BB4_32 Depth=1
	s_wait_xcnt 0x0
	s_or_b32 exec_lo, exec_lo, s11
	s_add_co_i32 s2, s2, 1
	v_add_nc_u64_e32 v[20:21], 4, v[20:21]
	v_cmp_eq_u32_e32 vcc_lo, s2, v8
	s_or_b32 s10, vcc_lo, s10
	s_delay_alu instid0(SALU_CYCLE_1)
	s_and_not1_b32 exec_lo, exec_lo, s10
	s_cbranch_execz .LBB4_37
.LBB4_32:                               ; =>This Loop Header: Depth=1
                                        ;     Child Loop BB4_33 Depth 2
	s_ashr_i32 s3, s2, 31
	s_add_co_i32 s11, s2, -1
	v_lshl_add_u64 v[24:25], s[2:3], 2, v[16:17]
	s_delay_alu instid0(VALU_DEP_2)
	v_mov_b64_e32 v[26:27], v[20:21]
	s_mov_b32 s14, 0
	s_mov_b32 s15, s2
	global_load_b32 v9, v[24:25], off offset:-4
	s_wait_loadcnt 0x0
	v_dual_mov_b32 v22, s11 :: v_dual_mov_b32 v19, v9
.LBB4_33:                               ;   Parent Loop BB4_32 Depth=1
                                        ; =>  This Inner Loop Header: Depth=2
	global_load_b32 v23, v[26:27], off
	s_wait_xcnt 0x0
	v_add_nc_u64_e32 v[26:27], 4, v[26:27]
	s_wait_loadcnt 0x0
	v_cmp_lt_f32_e32 vcc_lo, v23, v19
	v_cndmask_b32_e64 v22, v22, s15, vcc_lo
	s_add_co_i32 s15, s15, 1
	v_cndmask_b32_e32 v19, v19, v23, vcc_lo
	v_cmp_eq_u32_e32 vcc_lo, s15, v8
	s_or_b32 s14, vcc_lo, s14
	s_delay_alu instid0(SALU_CYCLE_1)
	s_and_not1_b32 exec_lo, exec_lo, s14
	s_cbranch_execnz .LBB4_33
; %bb.34:                               ;   in Loop: Header=BB4_32 Depth=1
	s_or_b32 exec_lo, exec_lo, s14
	v_cmp_ne_u32_e32 vcc_lo, s11, v22
	s_and_saveexec_b32 s11, vcc_lo
	s_cbranch_execz .LBB4_31
; %bb.35:                               ;   in Loop: Header=BB4_32 Depth=1
	v_ashrrev_i32_e32 v23, 31, v22
	s_and_not1_b32 vcc_lo, exec_lo, s7
	s_delay_alu instid0(VALU_DEP_1)
	v_lshl_add_u64 v[26:27], v[22:23], 2, v[16:17]
	s_clause 0x1
	global_store_b32 v[26:27], v9, off
	global_store_b32 v[24:25], v19, off offset:-4
	s_cbranch_vccnz .LBB4_31
; %bb.36:                               ;   in Loop: Header=BB4_32 Depth=1
	s_wait_xcnt 0x0
	v_lshl_add_u64 v[24:25], s[2:3], 2, v[10:11]
	v_lshl_add_u64 v[22:23], v[22:23], 2, v[10:11]
	s_clause 0x1
	global_load_b32 v9, v[24:25], off offset:-4
	global_load_b32 v19, v[22:23], off
	s_wait_loadcnt 0x1
	global_store_b32 v[22:23], v9, off
	s_wait_loadcnt 0x0
	global_store_b32 v[24:25], v19, off offset:-4
	s_branch .LBB4_31
.LBB4_37:
	s_or_b32 exec_lo, exec_lo, s6
	v_mov_b32_e32 v10, 0
	s_mov_b32 s6, exec_lo
	v_cmpx_lt_i32_e32 0, v8
	s_cbranch_execz .LBB4_52
; %bb.38:
	s_load_b128 s[16:19], s[0:1], 0x18
	v_add_nc_u32_e32 v9, -1, v8
	s_wait_kmcnt 0x0
	s_ashr_i32 s1, s19, 31
	s_mov_b32 s0, s19
	s_ashr_i32 s3, s18, 31
	v_mul_u64_e32 v[10:11], s[0:1], v[4:5]
	s_add_co_i32 s1, s30, -1
	s_mov_b32 s2, s18
	v_mul_lo_u32 v20, v4, s1
	s_lshl_b64 s[2:3], s[2:3], 2
	v_ashrrev_i32_e32 v19, 31, v18
	s_add_nc_u64 s[10:11], s[16:17], s[2:3]
	s_cmp_gt_i32 s30, 1
	s_cselect_b32 s7, -1, 0
	s_delay_alu instid0(VALU_DEP_2) | instskip(SKIP_1) | instid1(VALU_DEP_2)
	v_ashrrev_i32_e32 v21, 31, v20
	v_lshl_add_u64 v[18:19], v[18:19], 2, s[26:27]
	v_lshl_add_u64 v[20:21], v[20:21], 2, s[24:25]
	v_lshlrev_b64_e32 v[10:11], 2, v[10:11]
	s_delay_alu instid0(VALU_DEP_1) | instskip(SKIP_2) | instid1(VALU_DEP_2)
	v_add_nc_u64_e32 v[22:23], s[16:17], v[10:11]
	v_add_nc_u64_e32 v[10:11], s[10:11], v[10:11]
	s_mov_b32 s10, 0
	v_add_nc_u64_e32 v[22:23], s[2:3], v[22:23]
	s_delay_alu instid0(VALU_DEP_2) | instskip(SKIP_2) | instid1(SALU_CYCLE_1)
	v_add_nc_u64_e32 v[24:25], 4, v[10:11]
	v_mov_b32_e32 v10, 0
	s_mov_b32 s3, 0
	s_mov_b32 s2, s3
	s_branch .LBB4_41
.LBB4_39:                               ;   in Loop: Header=BB4_41 Depth=1
	s_wait_xcnt 0x0
	s_or_b32 exec_lo, exec_lo, s0
.LBB4_40:                               ;   in Loop: Header=BB4_41 Depth=1
	s_delay_alu instid0(SALU_CYCLE_1) | instskip(SKIP_1) | instid1(SALU_CYCLE_1)
	s_or_b32 exec_lo, exec_lo, s11
	s_add_co_i32 s2, s2, 1
	v_cmp_eq_u32_e32 vcc_lo, s2, v8
	s_or_b32 s10, vcc_lo, s10
	s_delay_alu instid0(SALU_CYCLE_1)
	s_and_not1_b32 exec_lo, exec_lo, s10
	s_cbranch_execz .LBB4_51
.LBB4_41:                               ; =>This Loop Header: Depth=1
                                        ;     Child Loop BB4_43 Depth 2
                                        ;     Child Loop BB4_48 Depth 2
	v_lshl_add_u64 v[26:27], s[2:3], 2, v[12:13]
	v_mov_b64_e32 v[28:29], v[16:17]
	s_mov_b32 s0, s3
	s_mov_b32 s16, s3
                                        ; implicit-def: $sgpr11
                                        ; implicit-def: $sgpr15
                                        ; implicit-def: $sgpr14
	global_load_b32 v30, v[26:27], off
	s_branch .LBB4_43
.LBB4_42:                               ;   in Loop: Header=BB4_43 Depth=2
	s_or_b32 exec_lo, exec_lo, s18
	s_delay_alu instid0(SALU_CYCLE_1) | instskip(SKIP_4) | instid1(SALU_CYCLE_1)
	s_and_b32 s18, exec_lo, s15
	v_mov_b32_e32 v31, s16
	s_or_b32 s0, s18, s0
	s_and_not1_b32 s11, s11, exec_lo
	s_and_b32 s16, s14, exec_lo
	s_or_b32 s11, s11, s16
	s_mov_b32 s16, s17
	s_and_not1_b32 exec_lo, exec_lo, s0
	s_cbranch_execz .LBB4_45
.LBB4_43:                               ;   Parent Loop BB4_41 Depth=1
                                        ; =>  This Inner Loop Header: Depth=2
	global_load_b32 v11, v[28:29], off
	s_wait_xcnt 0x1
	v_mov_b64_e32 v[26:27], v[28:29]
	s_or_b32 s14, s14, exec_lo
	s_or_b32 s15, s15, exec_lo
	s_mov_b32 s18, exec_lo
                                        ; implicit-def: $sgpr17
                                        ; implicit-def: $vgpr28_vgpr29
	s_wait_loadcnt 0x0
	v_cmpx_neq_f32_e32 v30, v11
	s_cbranch_execz .LBB4_42
; %bb.44:                               ;   in Loop: Header=BB4_43 Depth=2
	s_add_co_i32 s17, s16, 1
	v_add_nc_u64_e32 v[28:29], 4, v[26:27]
	v_cmp_eq_u32_e32 vcc_lo, s17, v8
	s_and_not1_b32 s15, s15, exec_lo
	s_and_not1_b32 s14, s14, exec_lo
	s_and_b32 s19, vcc_lo, exec_lo
	s_delay_alu instid0(SALU_CYCLE_1)
	s_or_b32 s15, s15, s19
	s_branch .LBB4_42
.LBB4_45:                               ;   in Loop: Header=BB4_41 Depth=1
	s_or_b32 exec_lo, exec_lo, s0
	s_and_saveexec_b32 s0, s11
	s_delay_alu instid0(SALU_CYCLE_1)
	s_xor_b32 s11, exec_lo, s0
	s_cbranch_execz .LBB4_40
; %bb.46:                               ;   in Loop: Header=BB4_41 Depth=1
	v_cmp_eq_u32_e32 vcc_lo, v31, v9
	v_dual_cndmask_b32 v27, v27, v19 :: v_dual_cndmask_b32 v26, v26, v18
	s_and_not1_b32 vcc_lo, exec_lo, s7
	global_load_b32 v28, v[26:27], off offset:4
	global_load_b32 v29, v[22:23], off
	s_wait_loadcnt 0x1
	v_sub_f32_e32 v11, v28, v11
	s_delay_alu instid0(VALU_DEP_1) | instskip(SKIP_1) | instid1(VALU_DEP_1)
	v_fma_f32 v31, 0.5, v11, v30
	s_wait_loadcnt 0x0
	v_sub_f32_e32 v28, v29, v31
	s_delay_alu instid0(VALU_DEP_1) | instskip(NEXT) | instid1(VALU_DEP_1)
	v_cmp_le_f32_e64 s0, v28, v38
	v_cndmask_b32_e64 v11, 0, 1, s0
	s_cbranch_vccnz .LBB4_49
; %bb.47:                               ;   in Loop: Header=BB4_41 Depth=1
	v_cmp_gt_f32_e64 s14, v28, -v38
	s_wait_xcnt 0x1
	v_mov_b64_e32 v[26:27], v[20:21]
	s_and_b32 s0, s0, s14
	s_delay_alu instid0(SALU_CYCLE_1)
	v_cndmask_b32_e64 v32, v28, -v38, s0
	v_mov_b64_e32 v[28:29], v[24:25]
	s_mov_b32 s0, s1
.LBB4_48:                               ;   Parent Loop BB4_41 Depth=1
                                        ; =>  This Inner Loop Header: Depth=2
	global_load_b32 v33, v[26:27], off
	global_load_b32 v34, v[28:29], off
	s_wait_xcnt 0x0
	v_add_nc_u64_e32 v[28:29], 4, v[28:29]
	v_add_nc_u64_e32 v[26:27], 4, v[26:27]
	s_add_co_i32 s0, s0, -1
	s_wait_loadcnt 0x1
	v_div_scale_f32 v35, null, v32, v32, v33
	v_div_scale_f32 v39, vcc_lo, v33, v32, v33
	s_wait_loadcnt 0x0
	v_sub_f32_e32 v34, v34, v31
	s_delay_alu instid0(VALU_DEP_3) | instskip(SKIP_1) | instid1(TRANS32_DEP_1)
	v_rcp_f32_e32 v36, v35
	v_nop
	v_fma_f32 v37, -v35, v36, 1.0
	s_delay_alu instid0(VALU_DEP_1) | instskip(NEXT) | instid1(VALU_DEP_1)
	v_fmac_f32_e32 v36, v37, v36
	v_mul_f32_e32 v37, v39, v36
	s_delay_alu instid0(VALU_DEP_1) | instskip(NEXT) | instid1(VALU_DEP_1)
	v_fma_f32 v40, -v35, v37, v39
	v_fmac_f32_e32 v37, v40, v36
	s_delay_alu instid0(VALU_DEP_1) | instskip(NEXT) | instid1(VALU_DEP_1)
	v_fma_f32 v35, -v35, v37, v39
	v_div_fmas_f32 v35, v35, v36, v37
	s_delay_alu instid0(VALU_DEP_1) | instskip(NEXT) | instid1(VALU_DEP_1)
	v_div_fixup_f32 v32, v35, v32, v33
	v_sub_f32_e32 v32, v34, v32
	s_delay_alu instid0(VALU_DEP_1)
	v_cmp_le_f32_e32 vcc_lo, v32, v38
	v_cmp_gt_f32_e64 s14, v32, -v38
	v_add_co_ci_u32_e64 v11, null, 0, v11, vcc_lo
	s_and_b32 s14, vcc_lo, s14
	s_cmp_lg_u32 s0, 0
	v_cndmask_b32_e64 v32, v32, -v38, s14
	s_cbranch_scc1 .LBB4_48
.LBB4_49:                               ;   in Loop: Header=BB4_41 Depth=1
	s_delay_alu instid0(VALU_DEP_1)
	v_cmp_le_i32_e32 vcc_lo, s31, v11
	v_cmp_ge_i32_e64 s0, s33, v11
	s_and_b32 s14, vcc_lo, s0
	s_wait_xcnt 0x0
	s_and_saveexec_b32 s0, s14
	s_cbranch_execz .LBB4_39
; %bb.50:                               ;   in Loop: Header=BB4_41 Depth=1
	v_lshl_add_u64 v[26:27], s[2:3], 2, v[14:15]
	v_ashrrev_i32_e32 v11, 31, v10
	global_load_b32 v31, v[26:27], off
	s_wait_xcnt 0x0
	v_lshlrev_b64_e32 v[26:27], 2, v[10:11]
	v_add_nc_u32_e32 v10, 1, v10
	s_delay_alu instid0(VALU_DEP_2)
	v_add_nc_u64_e32 v[28:29], v[0:1], v[26:27]
	v_add_nc_u64_e32 v[26:27], v[2:3], v[26:27]
	global_store_b32 v[28:29], v30, off
	s_wait_loadcnt 0x0
	global_store_b32 v[26:27], v31, off
	s_branch .LBB4_39
.LBB4_51:
	s_or_b32 exec_lo, exec_lo, s10
.LBB4_52:
	s_delay_alu instid0(SALU_CYCLE_1)
	s_or_b32 exec_lo, exec_lo, s6
.LBB4_53:
	v_cmp_lt_i32_e32 vcc_lo, 1, v10
	s_cmp_eq_u32 s29, 0xf2
	v_lshl_add_u64 v[4:5], v[4:5], 2, s[4:5]
	s_cselect_b32 s1, -1, 0
	s_mov_b32 s0, 1
	s_and_b32 s1, s1, vcc_lo
	global_store_b32 v[4:5], v10, off
	s_wait_xcnt 0x0
	s_and_b32 exec_lo, exec_lo, s1
	s_cbranch_execz .LBB4_61
; %bb.54:
	v_lshl_add_u64 v[4:5], v[6:7], 2, s[8:9]
	s_cmp_lg_u64 s[12:13], 0
	s_mov_b32 s3, 0
	s_cselect_b32 s2, -1, 0
	s_delay_alu instid0(VALU_DEP_1)
	v_add_nc_u64_e32 v[4:5], 4, v[4:5]
	s_branch .LBB4_56
.LBB4_55:                               ;   in Loop: Header=BB4_56 Depth=1
	s_wait_xcnt 0x0
	s_or_b32 exec_lo, exec_lo, s4
	s_add_co_i32 s0, s0, 1
	v_add_nc_u64_e32 v[4:5], 4, v[4:5]
	v_cmp_eq_u32_e32 vcc_lo, s0, v10
	s_or_b32 s3, vcc_lo, s3
	s_delay_alu instid0(SALU_CYCLE_1)
	s_and_not1_b32 exec_lo, exec_lo, s3
	s_cbranch_execz .LBB4_61
.LBB4_56:                               ; =>This Loop Header: Depth=1
                                        ;     Child Loop BB4_57 Depth 2
	s_ashr_i32 s1, s0, 31
	s_add_co_i32 s4, s0, -1
	v_lshl_add_u64 v[8:9], s[0:1], 2, v[0:1]
	s_delay_alu instid0(VALU_DEP_2)
	v_mov_b64_e32 v[12:13], v[4:5]
	s_mov_b32 s5, 0
	s_mov_b32 s6, s0
	global_load_b32 v11, v[8:9], off offset:-4
	s_wait_loadcnt 0x0
	v_dual_mov_b32 v6, s4 :: v_dual_mov_b32 v14, v11
.LBB4_57:                               ;   Parent Loop BB4_56 Depth=1
                                        ; =>  This Inner Loop Header: Depth=2
	global_load_b32 v7, v[12:13], off
	s_wait_xcnt 0x0
	v_add_nc_u64_e32 v[12:13], 4, v[12:13]
	s_wait_loadcnt 0x0
	v_cmp_lt_f32_e32 vcc_lo, v7, v14
	v_cndmask_b32_e64 v6, v6, s6, vcc_lo
	s_add_co_i32 s6, s6, 1
	v_cndmask_b32_e32 v14, v14, v7, vcc_lo
	v_cmp_eq_u32_e32 vcc_lo, s6, v10
	s_or_b32 s5, vcc_lo, s5
	s_delay_alu instid0(SALU_CYCLE_1)
	s_and_not1_b32 exec_lo, exec_lo, s5
	s_cbranch_execnz .LBB4_57
; %bb.58:                               ;   in Loop: Header=BB4_56 Depth=1
	s_or_b32 exec_lo, exec_lo, s5
	v_cmp_ne_u32_e32 vcc_lo, s4, v6
	s_and_saveexec_b32 s4, vcc_lo
	s_cbranch_execz .LBB4_55
; %bb.59:                               ;   in Loop: Header=BB4_56 Depth=1
	v_ashrrev_i32_e32 v7, 31, v6
	s_and_not1_b32 vcc_lo, exec_lo, s2
	s_delay_alu instid0(VALU_DEP_1)
	v_lshl_add_u64 v[12:13], v[6:7], 2, v[0:1]
	s_clause 0x1
	global_store_b32 v[12:13], v11, off
	global_store_b32 v[8:9], v14, off offset:-4
	s_cbranch_vccnz .LBB4_55
; %bb.60:                               ;   in Loop: Header=BB4_56 Depth=1
	s_wait_xcnt 0x0
	v_lshl_add_u64 v[8:9], s[0:1], 2, v[2:3]
	v_lshl_add_u64 v[6:7], v[6:7], 2, v[2:3]
	s_clause 0x1
	global_load_b32 v11, v[8:9], off offset:-4
	global_load_b32 v12, v[6:7], off
	s_wait_loadcnt 0x1
	global_store_b32 v[6:7], v11, off
	s_wait_loadcnt 0x0
	global_store_b32 v[8:9], v12, off offset:-4
	s_branch .LBB4_55
.LBB4_61:
	s_endpgm
	.section	.rodata,"a",@progbits
	.p2align	6, 0x0
	.amdhsa_kernel _ZN9rocsolver6v33100L22stebz_synthesis_kernelIfPfEEv15rocblas_erange_15rocblas_eorder_iiiT0_iiPiS6_PT_lS6_lS6_liS6_S8_S8_S8_S8_S6_S7_
		.amdhsa_group_segment_fixed_size 0
		.amdhsa_private_segment_fixed_size 0
		.amdhsa_kernarg_size 424
		.amdhsa_user_sgpr_count 2
		.amdhsa_user_sgpr_dispatch_ptr 0
		.amdhsa_user_sgpr_queue_ptr 0
		.amdhsa_user_sgpr_kernarg_segment_ptr 1
		.amdhsa_user_sgpr_dispatch_id 0
		.amdhsa_user_sgpr_kernarg_preload_length 0
		.amdhsa_user_sgpr_kernarg_preload_offset 0
		.amdhsa_user_sgpr_private_segment_size 0
		.amdhsa_wavefront_size32 1
		.amdhsa_uses_dynamic_stack 0
		.amdhsa_enable_private_segment 0
		.amdhsa_system_sgpr_workgroup_id_x 1
		.amdhsa_system_sgpr_workgroup_id_y 0
		.amdhsa_system_sgpr_workgroup_id_z 0
		.amdhsa_system_sgpr_workgroup_info 0
		.amdhsa_system_vgpr_workitem_id 0
		.amdhsa_next_free_vgpr 42
		.amdhsa_next_free_sgpr 34
		.amdhsa_named_barrier_count 0
		.amdhsa_reserve_vcc 1
		.amdhsa_float_round_mode_32 0
		.amdhsa_float_round_mode_16_64 0
		.amdhsa_float_denorm_mode_32 3
		.amdhsa_float_denorm_mode_16_64 3
		.amdhsa_fp16_overflow 0
		.amdhsa_memory_ordered 1
		.amdhsa_forward_progress 1
		.amdhsa_inst_pref_size 22
		.amdhsa_round_robin_scheduling 0
		.amdhsa_exception_fp_ieee_invalid_op 0
		.amdhsa_exception_fp_denorm_src 0
		.amdhsa_exception_fp_ieee_div_zero 0
		.amdhsa_exception_fp_ieee_overflow 0
		.amdhsa_exception_fp_ieee_underflow 0
		.amdhsa_exception_fp_ieee_inexact 0
		.amdhsa_exception_int_div_zero 0
	.end_amdhsa_kernel
	.section	.text._ZN9rocsolver6v33100L22stebz_synthesis_kernelIfPfEEv15rocblas_erange_15rocblas_eorder_iiiT0_iiPiS6_PT_lS6_lS6_liS6_S8_S8_S8_S8_S6_S7_,"axG",@progbits,_ZN9rocsolver6v33100L22stebz_synthesis_kernelIfPfEEv15rocblas_erange_15rocblas_eorder_iiiT0_iiPiS6_PT_lS6_lS6_liS6_S8_S8_S8_S8_S6_S7_,comdat
.Lfunc_end4:
	.size	_ZN9rocsolver6v33100L22stebz_synthesis_kernelIfPfEEv15rocblas_erange_15rocblas_eorder_iiiT0_iiPiS6_PT_lS6_lS6_liS6_S8_S8_S8_S8_S6_S7_, .Lfunc_end4-_ZN9rocsolver6v33100L22stebz_synthesis_kernelIfPfEEv15rocblas_erange_15rocblas_eorder_iiiT0_iiPiS6_PT_lS6_lS6_liS6_S8_S8_S8_S8_S6_S7_
                                        ; -- End function
	.set _ZN9rocsolver6v33100L22stebz_synthesis_kernelIfPfEEv15rocblas_erange_15rocblas_eorder_iiiT0_iiPiS6_PT_lS6_lS6_liS6_S8_S8_S8_S8_S6_S7_.num_vgpr, 42
	.set _ZN9rocsolver6v33100L22stebz_synthesis_kernelIfPfEEv15rocblas_erange_15rocblas_eorder_iiiT0_iiPiS6_PT_lS6_lS6_liS6_S8_S8_S8_S8_S6_S7_.num_agpr, 0
	.set _ZN9rocsolver6v33100L22stebz_synthesis_kernelIfPfEEv15rocblas_erange_15rocblas_eorder_iiiT0_iiPiS6_PT_lS6_lS6_liS6_S8_S8_S8_S8_S6_S7_.numbered_sgpr, 34
	.set _ZN9rocsolver6v33100L22stebz_synthesis_kernelIfPfEEv15rocblas_erange_15rocblas_eorder_iiiT0_iiPiS6_PT_lS6_lS6_liS6_S8_S8_S8_S8_S6_S7_.num_named_barrier, 0
	.set _ZN9rocsolver6v33100L22stebz_synthesis_kernelIfPfEEv15rocblas_erange_15rocblas_eorder_iiiT0_iiPiS6_PT_lS6_lS6_liS6_S8_S8_S8_S8_S6_S7_.private_seg_size, 0
	.set _ZN9rocsolver6v33100L22stebz_synthesis_kernelIfPfEEv15rocblas_erange_15rocblas_eorder_iiiT0_iiPiS6_PT_lS6_lS6_liS6_S8_S8_S8_S8_S6_S7_.uses_vcc, 1
	.set _ZN9rocsolver6v33100L22stebz_synthesis_kernelIfPfEEv15rocblas_erange_15rocblas_eorder_iiiT0_iiPiS6_PT_lS6_lS6_liS6_S8_S8_S8_S8_S6_S7_.uses_flat_scratch, 0
	.set _ZN9rocsolver6v33100L22stebz_synthesis_kernelIfPfEEv15rocblas_erange_15rocblas_eorder_iiiT0_iiPiS6_PT_lS6_lS6_liS6_S8_S8_S8_S8_S6_S7_.has_dyn_sized_stack, 0
	.set _ZN9rocsolver6v33100L22stebz_synthesis_kernelIfPfEEv15rocblas_erange_15rocblas_eorder_iiiT0_iiPiS6_PT_lS6_lS6_liS6_S8_S8_S8_S8_S6_S7_.has_recursion, 0
	.set _ZN9rocsolver6v33100L22stebz_synthesis_kernelIfPfEEv15rocblas_erange_15rocblas_eorder_iiiT0_iiPiS6_PT_lS6_lS6_liS6_S8_S8_S8_S8_S6_S7_.has_indirect_call, 0
	.section	.AMDGPU.csdata,"",@progbits
; Kernel info:
; codeLenInByte = 2712
; TotalNumSgprs: 36
; NumVgprs: 42
; ScratchSize: 0
; MemoryBound: 0
; FloatMode: 240
; IeeeMode: 1
; LDSByteSize: 0 bytes/workgroup (compile time only)
; SGPRBlocks: 0
; VGPRBlocks: 2
; NumSGPRsForWavesPerEU: 36
; NumVGPRsForWavesPerEU: 42
; NamedBarCnt: 0
; Occupancy: 16
; WaveLimiterHint : 1
; COMPUTE_PGM_RSRC2:SCRATCH_EN: 0
; COMPUTE_PGM_RSRC2:USER_SGPR: 2
; COMPUTE_PGM_RSRC2:TRAP_HANDLER: 0
; COMPUTE_PGM_RSRC2:TGID_X_EN: 1
; COMPUTE_PGM_RSRC2:TGID_Y_EN: 0
; COMPUTE_PGM_RSRC2:TGID_Z_EN: 0
; COMPUTE_PGM_RSRC2:TIDIG_COMP_CNT: 0
	.section	.text._ZN9rocsolver6v33100L18stebz_case1_kernelIdPdEEv15rocblas_erange_T_S4_T0_ilPiS6_PS4_lS6_lS6_li,"axG",@progbits,_ZN9rocsolver6v33100L18stebz_case1_kernelIdPdEEv15rocblas_erange_T_S4_T0_ilPiS6_PS4_lS6_lS6_li,comdat
	.globl	_ZN9rocsolver6v33100L18stebz_case1_kernelIdPdEEv15rocblas_erange_T_S4_T0_ilPiS6_PS4_lS6_lS6_li ; -- Begin function _ZN9rocsolver6v33100L18stebz_case1_kernelIdPdEEv15rocblas_erange_T_S4_T0_ilPiS6_PS4_lS6_lS6_li
	.p2align	8
	.type	_ZN9rocsolver6v33100L18stebz_case1_kernelIdPdEEv15rocblas_erange_T_S4_T0_ilPiS6_PS4_lS6_lS6_li,@function
_ZN9rocsolver6v33100L18stebz_case1_kernelIdPdEEv15rocblas_erange_T_S4_T0_ilPiS6_PS4_lS6_lS6_li: ; @_ZN9rocsolver6v33100L18stebz_case1_kernelIdPdEEv15rocblas_erange_T_S4_T0_ilPiS6_PS4_lS6_lS6_li
; %bb.0:
	s_clause 0x1
	s_load_b32 s2, s[0:1], 0x84
	s_load_b32 s3, s[0:1], 0x70
	s_bfe_u32 s4, ttmp6, 0x4000c
	s_and_b32 s5, ttmp6, 15
	s_add_co_i32 s4, s4, 1
	s_getreg_b32 s6, hwreg(HW_REG_IB_STS2, 6, 4)
	s_mul_i32 s4, ttmp9, s4
	s_delay_alu instid0(SALU_CYCLE_1) | instskip(SKIP_4) | instid1(SALU_CYCLE_1)
	s_add_co_i32 s5, s5, s4
	s_wait_kmcnt 0x0
	s_and_b32 s2, s2, 0xffff
	s_cmp_eq_u32 s6, 0
	s_cselect_b32 s4, ttmp9, s5
	v_mad_u32 v0, s4, s2, v0
	s_mov_b32 s2, 0
	s_delay_alu instid0(VALU_DEP_1)
	v_cmp_gt_i32_e32 vcc_lo, s3, v0
	s_and_saveexec_b32 s3, vcc_lo
	s_cbranch_execz .LBB5_5
; %bb.1:
	s_load_b512 s[4:19], s[0:1], 0x28
	v_dual_mov_b32 v6, 1 :: v_dual_ashrrev_i32 v1, 31, v0
	s_clause 0x1
	s_load_b96 s[20:22], s[0:1], 0x18
	s_load_b32 s3, s[0:1], 0x0
	s_wait_kmcnt 0x0
	v_mul_u64_e32 v[2:3], s[4:5], v[0:1]
	global_store_b32 v0, v6, s[8:9] scale_offset
	s_ashr_i32 s5, s22, 31
	s_mov_b32 s4, s22
	s_cmp_lg_u32 s3, 0xe8
	s_cselect_b32 s3, -1, 0
	s_delay_alu instid0(SALU_CYCLE_1) | instskip(SKIP_1) | instid1(VALU_DEP_1)
	s_and_b32 vcc_lo, exec_lo, s3
	v_lshl_add_u64 v[2:3], v[2:3], 3, s[20:21]
	v_lshl_add_u64 v[2:3], s[4:5], 3, v[2:3]
	s_load_b64 s[4:5], s[0:1], 0x68
	global_load_b64 v[2:3], v[2:3], off
	s_wait_kmcnt 0x0
	v_mul_u64_e32 v[4:5], s[4:5], v[0:1]
	s_delay_alu instid0(VALU_DEP_1)
	v_lshl_add_u64 v[4:5], v[4:5], 2, s[18:19]
	global_store_b32 v[4:5], v6, off
	s_cbranch_vccz .LBB5_6
; %bb.2:
	s_wait_xcnt 0x0
	v_lshl_add_u64 v[4:5], v[0:1], 2, s[6:7]
	s_and_saveexec_b32 s0, s3
	s_delay_alu instid0(SALU_CYCLE_1)
	s_xor_b32 s0, exec_lo, s0
	s_cbranch_execnz .LBB5_7
.LBB5_3:
	s_or_b32 exec_lo, exec_lo, s0
	s_delay_alu instid0(SALU_CYCLE_1)
	s_and_b32 exec_lo, exec_lo, s2
	s_cbranch_execz .LBB5_5
.LBB5_4:
	v_mov_b32_e32 v0, 0
	global_store_b32 v[4:5], v0, off
.LBB5_5:
	s_endpgm
.LBB5_6:
	s_load_b128 s[20:23], s[0:1], 0x8
	s_wait_xcnt 0x0
	s_and_not1_b32 s1, s3, exec_lo
	s_mov_b32 s2, -1
	s_wait_loadcnt 0x0
	s_wait_kmcnt 0x0
	v_cmp_nge_f64_e32 vcc_lo, s[20:21], v[2:3]
	v_cmp_nlt_f64_e64 s0, s[22:23], v[2:3]
	s_and_b32 s0, vcc_lo, s0
	s_delay_alu instid0(SALU_CYCLE_1) | instskip(NEXT) | instid1(SALU_CYCLE_1)
	s_and_b32 s0, s0, exec_lo
	s_or_b32 s3, s1, s0
	v_lshl_add_u64 v[4:5], v[0:1], 2, s[6:7]
	s_and_saveexec_b32 s0, s3
	s_delay_alu instid0(SALU_CYCLE_1)
	s_xor_b32 s0, exec_lo, s0
	s_cbranch_execz .LBB5_3
.LBB5_7:
	v_mul_u64_e32 v[6:7], s[12:13], v[0:1]
	v_mul_u64_e32 v[0:1], s[16:17], v[0:1]
	v_mov_b32_e32 v8, 1
	s_and_not1_b32 s2, s2, exec_lo
	s_delay_alu instid0(VALU_DEP_3) | instskip(NEXT) | instid1(VALU_DEP_3)
	v_lshl_add_u64 v[6:7], v[6:7], 3, s[10:11]
	v_lshl_add_u64 v[0:1], v[0:1], 2, s[14:15]
	global_store_b32 v[4:5], v8, off
	s_wait_loadcnt 0x0
	global_store_b64 v[6:7], v[2:3], off
	global_store_b32 v[0:1], v8, off
	s_wait_xcnt 0x0
	s_or_b32 exec_lo, exec_lo, s0
	s_delay_alu instid0(SALU_CYCLE_1)
	s_and_b32 exec_lo, exec_lo, s2
	s_cbranch_execnz .LBB5_4
	s_branch .LBB5_5
	.section	.rodata,"a",@progbits
	.p2align	6, 0x0
	.amdhsa_kernel _ZN9rocsolver6v33100L18stebz_case1_kernelIdPdEEv15rocblas_erange_T_S4_T0_ilPiS6_PS4_lS6_lS6_li
		.amdhsa_group_segment_fixed_size 0
		.amdhsa_private_segment_fixed_size 0
		.amdhsa_kernarg_size 376
		.amdhsa_user_sgpr_count 2
		.amdhsa_user_sgpr_dispatch_ptr 0
		.amdhsa_user_sgpr_queue_ptr 0
		.amdhsa_user_sgpr_kernarg_segment_ptr 1
		.amdhsa_user_sgpr_dispatch_id 0
		.amdhsa_user_sgpr_kernarg_preload_length 0
		.amdhsa_user_sgpr_kernarg_preload_offset 0
		.amdhsa_user_sgpr_private_segment_size 0
		.amdhsa_wavefront_size32 1
		.amdhsa_uses_dynamic_stack 0
		.amdhsa_enable_private_segment 0
		.amdhsa_system_sgpr_workgroup_id_x 1
		.amdhsa_system_sgpr_workgroup_id_y 0
		.amdhsa_system_sgpr_workgroup_id_z 0
		.amdhsa_system_sgpr_workgroup_info 0
		.amdhsa_system_vgpr_workitem_id 0
		.amdhsa_next_free_vgpr 9
		.amdhsa_next_free_sgpr 24
		.amdhsa_named_barrier_count 0
		.amdhsa_reserve_vcc 1
		.amdhsa_float_round_mode_32 0
		.amdhsa_float_round_mode_16_64 0
		.amdhsa_float_denorm_mode_32 3
		.amdhsa_float_denorm_mode_16_64 3
		.amdhsa_fp16_overflow 0
		.amdhsa_memory_ordered 1
		.amdhsa_forward_progress 1
		.amdhsa_inst_pref_size 4
		.amdhsa_round_robin_scheduling 0
		.amdhsa_exception_fp_ieee_invalid_op 0
		.amdhsa_exception_fp_denorm_src 0
		.amdhsa_exception_fp_ieee_div_zero 0
		.amdhsa_exception_fp_ieee_overflow 0
		.amdhsa_exception_fp_ieee_underflow 0
		.amdhsa_exception_fp_ieee_inexact 0
		.amdhsa_exception_int_div_zero 0
	.end_amdhsa_kernel
	.section	.text._ZN9rocsolver6v33100L18stebz_case1_kernelIdPdEEv15rocblas_erange_T_S4_T0_ilPiS6_PS4_lS6_lS6_li,"axG",@progbits,_ZN9rocsolver6v33100L18stebz_case1_kernelIdPdEEv15rocblas_erange_T_S4_T0_ilPiS6_PS4_lS6_lS6_li,comdat
.Lfunc_end5:
	.size	_ZN9rocsolver6v33100L18stebz_case1_kernelIdPdEEv15rocblas_erange_T_S4_T0_ilPiS6_PS4_lS6_lS6_li, .Lfunc_end5-_ZN9rocsolver6v33100L18stebz_case1_kernelIdPdEEv15rocblas_erange_T_S4_T0_ilPiS6_PS4_lS6_lS6_li
                                        ; -- End function
	.set _ZN9rocsolver6v33100L18stebz_case1_kernelIdPdEEv15rocblas_erange_T_S4_T0_ilPiS6_PS4_lS6_lS6_li.num_vgpr, 9
	.set _ZN9rocsolver6v33100L18stebz_case1_kernelIdPdEEv15rocblas_erange_T_S4_T0_ilPiS6_PS4_lS6_lS6_li.num_agpr, 0
	.set _ZN9rocsolver6v33100L18stebz_case1_kernelIdPdEEv15rocblas_erange_T_S4_T0_ilPiS6_PS4_lS6_lS6_li.numbered_sgpr, 24
	.set _ZN9rocsolver6v33100L18stebz_case1_kernelIdPdEEv15rocblas_erange_T_S4_T0_ilPiS6_PS4_lS6_lS6_li.num_named_barrier, 0
	.set _ZN9rocsolver6v33100L18stebz_case1_kernelIdPdEEv15rocblas_erange_T_S4_T0_ilPiS6_PS4_lS6_lS6_li.private_seg_size, 0
	.set _ZN9rocsolver6v33100L18stebz_case1_kernelIdPdEEv15rocblas_erange_T_S4_T0_ilPiS6_PS4_lS6_lS6_li.uses_vcc, 1
	.set _ZN9rocsolver6v33100L18stebz_case1_kernelIdPdEEv15rocblas_erange_T_S4_T0_ilPiS6_PS4_lS6_lS6_li.uses_flat_scratch, 0
	.set _ZN9rocsolver6v33100L18stebz_case1_kernelIdPdEEv15rocblas_erange_T_S4_T0_ilPiS6_PS4_lS6_lS6_li.has_dyn_sized_stack, 0
	.set _ZN9rocsolver6v33100L18stebz_case1_kernelIdPdEEv15rocblas_erange_T_S4_T0_ilPiS6_PS4_lS6_lS6_li.has_recursion, 0
	.set _ZN9rocsolver6v33100L18stebz_case1_kernelIdPdEEv15rocblas_erange_T_S4_T0_ilPiS6_PS4_lS6_lS6_li.has_indirect_call, 0
	.section	.AMDGPU.csdata,"",@progbits
; Kernel info:
; codeLenInByte = 500
; TotalNumSgprs: 26
; NumVgprs: 9
; ScratchSize: 0
; MemoryBound: 0
; FloatMode: 240
; IeeeMode: 1
; LDSByteSize: 0 bytes/workgroup (compile time only)
; SGPRBlocks: 0
; VGPRBlocks: 0
; NumSGPRsForWavesPerEU: 26
; NumVGPRsForWavesPerEU: 9
; NamedBarCnt: 0
; Occupancy: 16
; WaveLimiterHint : 0
; COMPUTE_PGM_RSRC2:SCRATCH_EN: 0
; COMPUTE_PGM_RSRC2:USER_SGPR: 2
; COMPUTE_PGM_RSRC2:TRAP_HANDLER: 0
; COMPUTE_PGM_RSRC2:TGID_X_EN: 1
; COMPUTE_PGM_RSRC2:TGID_Y_EN: 0
; COMPUTE_PGM_RSRC2:TGID_Z_EN: 0
; COMPUTE_PGM_RSRC2:TIDIG_COMP_CNT: 0
	.section	.text._ZN9rocsolver6v33100L22stebz_splitting_kernelIdPdEEv15rocblas_erange_iT_S4_iiT0_iiS5_iiPiPS4_lS6_lS6_S7_S7_S7_S7_S6_S4_S4_,"axG",@progbits,_ZN9rocsolver6v33100L22stebz_splitting_kernelIdPdEEv15rocblas_erange_iT_S4_iiT0_iiS5_iiPiPS4_lS6_lS6_S7_S7_S7_S7_S6_S4_S4_,comdat
	.globl	_ZN9rocsolver6v33100L22stebz_splitting_kernelIdPdEEv15rocblas_erange_iT_S4_iiT0_iiS5_iiPiPS4_lS6_lS6_S7_S7_S7_S7_S6_S4_S4_ ; -- Begin function _ZN9rocsolver6v33100L22stebz_splitting_kernelIdPdEEv15rocblas_erange_iT_S4_iiT0_iiS5_iiPiPS4_lS6_lS6_S7_S7_S7_S7_S6_S4_S4_
	.p2align	8
	.type	_ZN9rocsolver6v33100L22stebz_splitting_kernelIdPdEEv15rocblas_erange_iT_S4_iiT0_iiS5_iiPiPS4_lS6_lS6_S7_S7_S7_S7_S6_S4_S4_,@function
_ZN9rocsolver6v33100L22stebz_splitting_kernelIdPdEEv15rocblas_erange_iT_S4_iiT0_iiS5_iiPiPS4_lS6_lS6_S7_S7_S7_S7_S6_S4_S4_: ; @_ZN9rocsolver6v33100L22stebz_splitting_kernelIdPdEEv15rocblas_erange_iT_S4_iiT0_iiS5_iiPiPS4_lS6_lS6_S7_S7_S7_S7_S6_S4_S4_
; %bb.0:
	s_load_b64 s[34:35], s[0:1], 0x0
	s_bfe_u32 s2, ttmp6, 0x40010
	s_bfe_u32 s3, ttmp6, 0x40004
	s_add_co_i32 s2, s2, 1
	s_getreg_b32 s4, hwreg(HW_REG_IB_STS2, 6, 4)
	s_mul_i32 s2, ttmp7, s2
	v_dual_mov_b32 v2, 0 :: v_dual_lshlrev_b32 v1, 2, v0
	s_add_co_i32 s3, s3, s2
	s_cmp_eq_u32 s4, 0
	v_mov_b32_e32 v6, 0
	s_cselect_b32 s36, ttmp7, s3
	s_mov_b32 s6, -1
	s_wait_kmcnt 0x0
	s_add_co_i32 s33, s35, -1
	s_delay_alu instid0(SALU_CYCLE_1) | instskip(NEXT) | instid1(SALU_CYCLE_1)
	s_ashr_i32 s2, s33, 31
	s_lshr_b32 s2, s2, 24
	s_delay_alu instid0(SALU_CYCLE_1) | instskip(NEXT) | instid1(SALU_CYCLE_1)
	s_add_co_i32 s2, s33, s2
	s_and_b32 s3, s2, 0xffffff00
	s_ashr_i32 s2, s2, 8
	s_sub_co_i32 s3, s33, s3
	s_delay_alu instid0(SALU_CYCLE_1)
	v_cmp_gt_i32_e32 vcc_lo, s3, v0
	v_add_co_ci_u32_e64 v20, null, s2, 0, vcc_lo
	v_cmp_eq_u32_e64 s2, 0, v0
	v_cmp_ne_u32_e32 vcc_lo, 0, v0
	ds_store_b32 v1, v20 offset:2048
	s_wait_dscnt 0x0
	s_barrier_signal -1
	s_barrier_wait -1
	s_and_saveexec_b32 s4, vcc_lo
	s_cbranch_execz .LBB6_16
; %bb.1:
	v_dual_mov_b32 v6, 0 :: v_dual_mov_b32 v3, 0
	s_mov_b32 s5, exec_lo
	v_cmpx_lt_u32_e32 3, v0
	s_cbranch_execz .LBB6_11
; %bb.2:
	v_dual_add_nc_u32 v3, -4, v0 :: v_dual_mov_b32 v9, 0
	v_mov_b64_e32 v[4:5], 0
	v_mov_b64_e32 v[6:7], 0
	s_delay_alu instid0(VALU_DEP_3) | instskip(SKIP_1) | instid1(VALU_DEP_2)
	v_lshrrev_b32_e32 v8, 2, v3
	v_cmp_lt_u32_e64 s3, 27, v3
	v_add_nc_u32_e32 v3, 1, v8
	s_and_saveexec_b32 s6, s3
	s_cbranch_execz .LBB6_6
; %bb.3:
	s_delay_alu instid0(VALU_DEP_1)
	v_and_b32_e32 v8, 0x7ffffff8, v3
	v_dual_mov_b32 v7, 0 :: v_dual_mov_b32 v6, 0
	v_dual_mov_b32 v5, 0 :: v_dual_mov_b32 v4, 0
	s_movk_i32 s8, 0x800
	s_mov_b32 s7, 0
	s_mov_b32 s9, 0
.LBB6_4:                                ; =>This Inner Loop Header: Depth=1
	v_mov_b32_e32 v9, s8
	s_add_co_i32 s9, s9, 32
	s_addk_co_i32 s8, 0x80
	ds_load_b128 v[10:13], v9
	ds_load_b128 v[14:17], v9 offset:16
	ds_load_b128 v[22:25], v9 offset:32
	;; [unrolled: 1-line block ×4, first 2 shown]
	v_add_nc_u32_e32 v8, -8, v8
	s_delay_alu instid0(VALU_DEP_1)
	v_cmp_eq_u32_e64 s3, 0, v8
	s_or_b32 s7, s3, s7
	s_wait_dscnt 0x4
	v_dual_add_nc_u32 v11, v11, v7 :: v_dual_add_nc_u32 v10, v10, v6
	v_dual_add_nc_u32 v13, v13, v5 :: v_dual_add_nc_u32 v12, v12, v4
	ds_load_b128 v[4:7], v9 offset:80
	s_wait_dscnt 0x4
	v_dual_add_nc_u32 v15, v15, v11 :: v_dual_add_nc_u32 v14, v14, v10
	v_dual_add_nc_u32 v17, v17, v13 :: v_dual_add_nc_u32 v16, v16, v12
	ds_load_b128 v[10:13], v9 offset:96
	;; [unrolled: 4-line block ×3, first 2 shown]
	s_wait_dscnt 0x4
	v_dual_add_nc_u32 v9, v27, v18 :: v_dual_add_nc_u32 v18, v26, v19
	v_dual_add_nc_u32 v19, v29, v21 :: v_dual_add_nc_u32 v21, v28, v22
	s_wait_dscnt 0x3
	s_delay_alu instid0(VALU_DEP_2) | instskip(NEXT) | instid1(VALU_DEP_2)
	v_dual_add_nc_u32 v9, v31, v9 :: v_dual_add_nc_u32 v18, v30, v18
	v_dual_add_nc_u32 v19, v33, v19 :: v_dual_add_nc_u32 v21, v32, v21
	s_wait_dscnt 0x2
	s_delay_alu instid0(VALU_DEP_2) | instskip(NEXT) | instid1(VALU_DEP_2)
	;; [unrolled: 4-line block ×3, first 2 shown]
	v_dual_mov_b32 v9, s9 :: v_dual_add_nc_u32 v5, v11, v5
	v_dual_add_nc_u32 v4, v10, v4 :: v_dual_add_nc_u32 v10, v13, v7
	s_wait_dscnt 0x0
	s_delay_alu instid0(VALU_DEP_2) | instskip(NEXT) | instid1(VALU_DEP_2)
	v_dual_add_nc_u32 v11, v12, v6 :: v_dual_add_nc_u32 v7, v15, v5
	v_dual_add_nc_u32 v6, v14, v4 :: v_dual_add_nc_u32 v5, v17, v10
	s_delay_alu instid0(VALU_DEP_2)
	v_add_nc_u32_e32 v4, v16, v11
	s_and_not1_b32 exec_lo, exec_lo, s7
	s_cbranch_execnz .LBB6_4
; %bb.5:
	s_or_b32 exec_lo, exec_lo, s7
.LBB6_6:
	s_delay_alu instid0(SALU_CYCLE_1) | instskip(NEXT) | instid1(VALU_DEP_1)
	s_or_b32 exec_lo, exec_lo, s6
	v_and_b32_e32 v3, 7, v3
	s_mov_b32 s7, 0
	s_mov_b32 s6, exec_lo
	s_delay_alu instid0(VALU_DEP_1)
	v_cmpx_ne_u32_e32 0, v3
	s_cbranch_execz .LBB6_10
; %bb.7:
	v_lshl_add_u32 v8, v9, 2, 0x800
.LBB6_8:                                ; =>This Inner Loop Header: Depth=1
	ds_load_b128 v[10:13], v8
	v_dual_add_nc_u32 v3, -1, v3 :: v_dual_add_nc_u32 v8, 16, v8
	s_delay_alu instid0(VALU_DEP_1)
	v_cmp_eq_u32_e64 s3, 0, v3
	s_or_b32 s7, s3, s7
	s_wait_dscnt 0x0
	v_dual_add_nc_u32 v7, v11, v7 :: v_dual_add_nc_u32 v6, v10, v6
	v_dual_add_nc_u32 v5, v13, v5 :: v_dual_add_nc_u32 v4, v12, v4
	s_and_not1_b32 exec_lo, exec_lo, s7
	s_cbranch_execnz .LBB6_8
; %bb.9:
	s_or_b32 exec_lo, exec_lo, s7
.LBB6_10:
	s_delay_alu instid0(SALU_CYCLE_1) | instskip(SKIP_2) | instid1(VALU_DEP_2)
	s_or_b32 exec_lo, exec_lo, s6
	v_and_b32_e32 v3, 0xfc, v0
	v_add_nc_u32_e32 v5, v5, v7
	v_cmp_ne_u32_e64 s3, v0, v3
	s_delay_alu instid0(VALU_DEP_2)
	v_add3_u32 v6, v4, v6, v5
	s_or_not1_b32 s6, s3, exec_lo
.LBB6_11:
	s_or_b32 exec_lo, exec_lo, s5
	s_and_saveexec_b32 s5, s6
	s_cbranch_execz .LBB6_15
; %bb.12:
	v_sub_nc_u32_e32 v4, v0, v3
	v_lshl_or_b32 v3, v3, 2, 0x800
	s_mov_b32 s6, 0
.LBB6_13:                               ; =>This Inner Loop Header: Depth=1
	ds_load_b32 v5, v3
	v_dual_add_nc_u32 v4, -1, v4 :: v_dual_add_nc_u32 v3, 4, v3
	s_delay_alu instid0(VALU_DEP_1)
	v_cmp_eq_u32_e64 s3, 0, v4
	s_or_b32 s6, s3, s6
	s_wait_dscnt 0x0
	v_add_nc_u32_e32 v6, v5, v6
	s_and_not1_b32 exec_lo, exec_lo, s6
	s_cbranch_execnz .LBB6_13
; %bb.14:
	s_or_b32 exec_lo, exec_lo, s6
.LBB6_15:
	s_delay_alu instid0(SALU_CYCLE_1)
	s_or_b32 exec_lo, exec_lo, s5
.LBB6_16:
	s_delay_alu instid0(SALU_CYCLE_1)
	s_or_b32 exec_lo, exec_lo, s4
	s_clause 0x3
	s_load_b128 s[28:31], s[0:1], 0x20
	s_load_b512 s[4:19], s[0:1], 0x40
	s_load_b64 s[38:39], s[0:1], 0xa0
	s_load_b256 s[20:27], s[0:1], 0x80
	s_mul_i32 s42, s35, s36
	v_ashrrev_i32_e32 v7, 31, v6
	s_ashr_i32 s43, s42, 31
	s_ashr_i32 s37, s36, 31
	s_lshl_b64 s[44:45], s[42:43], 2
	s_mul_i32 s40, s33, s36
	s_delay_alu instid0(SALU_CYCLE_1)
	s_ashr_i32 s41, s40, 31
	s_wait_kmcnt 0x0
	s_ashr_i32 s47, s31, 31
	s_add_nc_u64 s[14:15], s[14:15], s[44:45]
	s_mov_b32 s46, s31
	v_lshl_add_u64 v[4:5], v[6:7], 2, s[14:15]
	s_ashr_i32 s43, s30, 31
	s_mov_b32 s42, s30
	s_mul_u64 s[14:15], s[46:47], s[36:37]
	s_mul_u64 s[8:9], s[8:9], s[36:37]
	s_mov_b32 s30, exec_lo
	v_cmpx_lt_i32_e32 0, v20
	s_cbranch_execz .LBB6_22
; %bb.17:
	s_load_b128 s[44:47], s[0:1], 0x30
	s_lshl_b64 s[48:49], s[14:15], 3
	s_lshl_b64 s[50:51], s[42:43], 3
	;; [unrolled: 1-line block ×4, first 2 shown]
	s_add_nc_u64 s[48:49], s[48:49], s[50:51]
	s_add_nc_u64 s[50:51], s[18:19], s[52:53]
	;; [unrolled: 1-line block ×3, first 2 shown]
	v_lshlrev_b64_e32 v[2:3], 3, v[6:7]
	s_add_nc_u64 s[48:49], s[28:29], s[48:49]
	s_mov_b32 s31, 0
	s_delay_alu instid0(VALU_DEP_1)
	v_add_nc_u64_e32 v[8:9], s[48:49], v[2:3]
	v_add_nc_u64_e32 v[10:11], s[50:51], v[2:3]
	;; [unrolled: 1-line block ×3, first 2 shown]
	s_wait_kmcnt 0x0
	s_ashr_i32 s57, s47, 31
	s_mov_b32 s56, s47
	s_ashr_i32 s55, s46, 31
	s_mov_b32 s54, s46
	s_mul_u64 s[46:47], s[36:37], s[56:57]
	s_lshl_b64 s[54:55], s[54:55], 3
	s_lshl_b64 s[46:47], s[46:47], 3
	s_delay_alu instid0(SALU_CYCLE_1) | instskip(NEXT) | instid1(SALU_CYCLE_1)
	s_add_nc_u64 s[46:47], s[46:47], s[54:55]
	s_add_nc_u64 s[44:45], s[44:45], s[46:47]
	s_delay_alu instid0(SALU_CYCLE_1)
	v_add_nc_u64_e32 v[12:13], s[44:45], v[2:3]
	v_mov_b32_e32 v2, 0
	s_branch .LBB6_19
.LBB6_18:                               ;   in Loop: Header=BB6_19 Depth=1
	s_wait_xcnt 0x0
	s_or_b32 exec_lo, exec_lo, s44
	v_dual_add_nc_u32 v20, -1, v20 :: v_dual_add_nc_u32 v6, 1, v6
	global_store_b64 v[10:11], v[18:19], off
	global_store_b64 v[14:15], v[16:17], off
	v_add_nc_u64_e32 v[12:13], 8, v[12:13]
	v_add_nc_u64_e32 v[8:9], 8, v[8:9]
	s_wait_xcnt 0x1
	v_add_nc_u64_e32 v[10:11], 8, v[10:11]
	v_cmp_eq_u32_e64 s3, 0, v20
	s_wait_xcnt 0x0
	v_add_nc_u64_e32 v[14:15], 8, v[14:15]
	s_or_b32 s31, s3, s31
	s_delay_alu instid0(SALU_CYCLE_1)
	s_and_not1_b32 exec_lo, exec_lo, s31
	s_cbranch_execz .LBB6_21
.LBB6_19:                               ; =>This Inner Loop Header: Depth=1
	global_load_b128 v[22:25], v[8:9], off
	global_load_b64 v[16:17], v[12:13], off
	s_mov_b32 s44, exec_lo
	s_wait_loadcnt 0x1
	v_mul_f64_e32 v[18:19], v[22:23], v[24:25]
	s_delay_alu instid0(VALU_DEP_1) | instskip(SKIP_2) | instid1(VALU_DEP_2)
	v_mul_f64_e64 v[22:23], s[26:27], |v[18:19]|
	s_wait_loadcnt 0x0
	v_mul_f64_e32 v[18:19], v[16:17], v[16:17]
	v_fma_f64 v[22:23], s[26:27], v[22:23], s[38:39]
	s_wait_xcnt 0x0
	s_delay_alu instid0(VALU_DEP_1)
	v_cmpx_gt_f64_e32 v[22:23], v[18:19]
	s_cbranch_execz .LBB6_18
; %bb.20:                               ;   in Loop: Header=BB6_19 Depth=1
	v_dual_ashrrev_i32 v3, 31, v2 :: v_dual_add_nc_u32 v7, 1, v2
	v_mov_b64_e32 v[18:19], 0
	v_mov_b64_e32 v[16:17], 0
	s_delay_alu instid0(VALU_DEP_3) | instskip(NEXT) | instid1(VALU_DEP_4)
	v_lshl_add_u64 v[22:23], v[2:3], 2, v[4:5]
	v_mov_b32_e32 v2, v7
	global_store_b32 v[22:23], v6, off
	s_branch .LBB6_18
.LBB6_21:
	s_or_b32 exec_lo, exec_lo, s31
.LBB6_22:
	s_delay_alu instid0(SALU_CYCLE_1)
	s_or_b32 exec_lo, exec_lo, s30
	v_or_b32_e32 v1, 0x800, v1
	v_mov_b32_e32 v6, 0
	ds_store_b32 v1, v2
	s_wait_storecnt_dscnt 0x0
	s_barrier_signal -1
	s_barrier_wait -1
	s_and_saveexec_b32 s3, vcc_lo
	s_cbranch_execz .LBB6_38
; %bb.23:
	v_dual_mov_b32 v6, 0 :: v_dual_mov_b32 v3, 0
	s_mov_b32 s31, -1
	s_mov_b32 s30, exec_lo
	v_cmpx_lt_u32_e32 3, v0
	s_cbranch_execz .LBB6_33
; %bb.24:
	v_dual_add_nc_u32 v3, -4, v0 :: v_dual_mov_b32 v11, 0
	v_mov_b64_e32 v[6:7], 0
	v_mov_b64_e32 v[8:9], 0
	s_delay_alu instid0(VALU_DEP_3) | instskip(SKIP_1) | instid1(VALU_DEP_2)
	v_lshrrev_b32_e32 v10, 2, v3
	v_cmp_lt_u32_e32 vcc_lo, 27, v3
	v_add_nc_u32_e32 v3, 1, v10
	s_and_saveexec_b32 s31, vcc_lo
	s_cbranch_execz .LBB6_28
; %bb.25:
	s_delay_alu instid0(VALU_DEP_1)
	v_and_b32_e32 v10, 0x7ffffff8, v3
	v_dual_mov_b32 v9, 0 :: v_dual_mov_b32 v8, 0
	v_dual_mov_b32 v7, 0 :: v_dual_mov_b32 v6, 0
	s_movk_i32 s45, 0x800
	s_mov_b32 s44, 0
	s_mov_b32 s46, 0
.LBB6_26:                               ; =>This Inner Loop Header: Depth=1
	v_mov_b32_e32 v11, s45
	s_add_co_i32 s46, s46, 32
	s_addk_co_i32 s45, 0x80
	ds_load_b128 v[12:15], v11
	ds_load_b128 v[16:19], v11 offset:16
	ds_load_b128 v[20:23], v11 offset:32
	;; [unrolled: 1-line block ×4, first 2 shown]
	s_wait_dscnt 0x4
	v_dual_add_nc_u32 v13, v13, v9 :: v_dual_add_nc_u32 v12, v12, v8
	v_dual_add_nc_u32 v15, v15, v7 :: v_dual_add_nc_u32 v14, v14, v6
	ds_load_b128 v[6:9], v11 offset:80
	s_wait_dscnt 0x4
	v_dual_add_nc_u32 v17, v17, v13 :: v_dual_add_nc_u32 v16, v16, v12
	v_dual_add_nc_u32 v19, v19, v15 :: v_dual_add_nc_u32 v18, v18, v14
	ds_load_b128 v[12:15], v11 offset:96
	s_wait_dscnt 0x4
	v_dual_add_nc_u32 v21, v21, v17 :: v_dual_add_nc_u32 v20, v20, v16
	v_dual_add_nc_u32 v23, v23, v19 :: v_dual_add_nc_u32 v22, v22, v18
	ds_load_b128 v[16:19], v11 offset:112
	s_wait_dscnt 0x4
	v_dual_add_nc_u32 v11, v25, v21 :: v_dual_add_nc_u32 v20, v24, v20
	v_dual_add_nc_u32 v21, v27, v23 :: v_dual_add_nc_u32 v22, v26, v22
	s_wait_dscnt 0x3
	s_delay_alu instid0(VALU_DEP_2) | instskip(NEXT) | instid1(VALU_DEP_2)
	v_dual_add_nc_u32 v11, v29, v11 :: v_dual_add_nc_u32 v20, v28, v20
	v_dual_add_nc_u32 v21, v31, v21 :: v_dual_add_nc_u32 v22, v30, v22
	s_wait_dscnt 0x2
	s_delay_alu instid0(VALU_DEP_2) | instskip(NEXT) | instid1(VALU_DEP_2)
	v_dual_add_nc_u32 v10, -8, v10 :: v_dual_add_nc_u32 v7, v7, v11
	v_dual_add_nc_u32 v6, v6, v20 :: v_dual_add_nc_u32 v9, v9, v21
	s_delay_alu instid0(VALU_DEP_3) | instskip(SKIP_1) | instid1(VALU_DEP_2)
	v_dual_mov_b32 v11, s46 :: v_dual_add_nc_u32 v8, v8, v22
	s_wait_dscnt 0x1
	v_dual_add_nc_u32 v7, v13, v7 :: v_dual_add_nc_u32 v6, v12, v6
	s_delay_alu instid0(VALU_DEP_2) | instskip(SKIP_2) | instid1(VALU_DEP_3)
	v_dual_add_nc_u32 v12, v15, v9 :: v_dual_add_nc_u32 v13, v14, v8
	v_cmp_eq_u32_e32 vcc_lo, 0, v10
	s_wait_dscnt 0x0
	v_dual_add_nc_u32 v9, v17, v7 :: v_dual_add_nc_u32 v8, v16, v6
	s_delay_alu instid0(VALU_DEP_3) | instskip(SKIP_1) | instid1(SALU_CYCLE_1)
	v_dual_add_nc_u32 v7, v19, v12 :: v_dual_add_nc_u32 v6, v18, v13
	s_or_b32 s44, vcc_lo, s44
	s_and_not1_b32 exec_lo, exec_lo, s44
	s_cbranch_execnz .LBB6_26
; %bb.27:
	s_or_b32 exec_lo, exec_lo, s44
.LBB6_28:
	s_delay_alu instid0(SALU_CYCLE_1) | instskip(NEXT) | instid1(VALU_DEP_1)
	s_or_b32 exec_lo, exec_lo, s31
	v_and_b32_e32 v3, 7, v3
	s_mov_b32 s44, 0
	s_mov_b32 s31, exec_lo
	s_delay_alu instid0(VALU_DEP_1)
	v_cmpx_ne_u32_e32 0, v3
	s_cbranch_execz .LBB6_32
; %bb.29:
	v_lshl_add_u32 v10, v11, 2, 0x800
.LBB6_30:                               ; =>This Inner Loop Header: Depth=1
	ds_load_b128 v[12:15], v10
	v_dual_add_nc_u32 v3, -1, v3 :: v_dual_add_nc_u32 v10, 16, v10
	s_delay_alu instid0(VALU_DEP_1)
	v_cmp_eq_u32_e32 vcc_lo, 0, v3
	s_or_b32 s44, vcc_lo, s44
	s_wait_dscnt 0x0
	v_dual_add_nc_u32 v9, v13, v9 :: v_dual_add_nc_u32 v8, v12, v8
	v_dual_add_nc_u32 v7, v15, v7 :: v_dual_add_nc_u32 v6, v14, v6
	s_and_not1_b32 exec_lo, exec_lo, s44
	s_cbranch_execnz .LBB6_30
; %bb.31:
	s_or_b32 exec_lo, exec_lo, s44
.LBB6_32:
	s_delay_alu instid0(SALU_CYCLE_1) | instskip(SKIP_2) | instid1(VALU_DEP_2)
	s_or_b32 exec_lo, exec_lo, s31
	v_and_b32_e32 v3, 0xfc, v0
	v_add_nc_u32_e32 v7, v7, v9
	v_cmp_ne_u32_e32 vcc_lo, v0, v3
	s_delay_alu instid0(VALU_DEP_2)
	v_add3_u32 v6, v6, v8, v7
	s_or_not1_b32 s31, vcc_lo, exec_lo
.LBB6_33:
	s_or_b32 exec_lo, exec_lo, s30
	s_and_saveexec_b32 s30, s31
	s_cbranch_execz .LBB6_37
; %bb.34:
	v_sub_nc_u32_e32 v7, v0, v3
	v_lshl_or_b32 v3, v3, 2, 0x800
	s_mov_b32 s31, 0
.LBB6_35:                               ; =>This Inner Loop Header: Depth=1
	ds_load_b32 v8, v3
	v_add_nc_u32_e32 v7, -1, v7
	s_wait_dscnt 0x0
	v_dual_add_nc_u32 v3, 4, v3 :: v_dual_add_nc_u32 v6, v8, v6
	s_delay_alu instid0(VALU_DEP_2) | instskip(SKIP_1) | instid1(SALU_CYCLE_1)
	v_cmp_eq_u32_e32 vcc_lo, 0, v7
	s_or_b32 s31, vcc_lo, s31
	s_and_not1_b32 exec_lo, exec_lo, s31
	s_cbranch_execnz .LBB6_35
; %bb.36:
	s_or_b32 exec_lo, exec_lo, s31
.LBB6_37:
	s_delay_alu instid0(SALU_CYCLE_1)
	s_or_b32 exec_lo, exec_lo, s30
.LBB6_38:
	s_delay_alu instid0(SALU_CYCLE_1)
	s_or_b32 exec_lo, exec_lo, s3
	s_mul_u64 s[12:13], s[12:13], s[36:37]
	s_mov_b32 s30, 0
	s_mov_b32 s3, exec_lo
	v_cmpx_lt_i32_e32 0, v2
	s_cbranch_execz .LBB6_41
; %bb.39:
	v_dual_ashrrev_i32 v7, 31, v6 :: v_dual_mov_b32 v3, v2
	s_lshl_b64 s[44:45], s[12:13], 2
	s_delay_alu instid0(SALU_CYCLE_1)
	s_add_nc_u64 s[44:45], s[10:11], s[44:45]
	s_delay_alu instid0(VALU_DEP_1) | instid1(SALU_CYCLE_1)
	v_lshl_add_u64 v[8:9], v[6:7], 2, s[44:45]
.LBB6_40:                               ; =>This Inner Loop Header: Depth=1
	global_load_b32 v7, v[4:5], off
	v_add_nc_u32_e32 v3, -1, v3
	s_wait_xcnt 0x0
	v_add_nc_u64_e32 v[4:5], 4, v[4:5]
	s_delay_alu instid0(VALU_DEP_2)
	v_cmp_eq_u32_e32 vcc_lo, 0, v3
	s_or_b32 s30, vcc_lo, s30
	s_wait_loadcnt 0x0
	v_add_nc_u32_e32 v7, 1, v7
	global_store_b32 v[8:9], v7, off
	s_wait_xcnt 0x0
	v_add_nc_u64_e32 v[8:9], 4, v[8:9]
	s_and_not1_b32 exec_lo, exec_lo, s30
	s_cbranch_execnz .LBB6_40
.LBB6_41:
	s_or_b32 exec_lo, exec_lo, s3
	v_cmp_eq_u32_e64 s3, 0xff, v0
	s_and_saveexec_b32 s30, s3
	s_cbranch_execz .LBB6_43
; %bb.42:
	v_dual_mov_b32 v3, 0 :: v_dual_add_nc_u32 v2, v6, v2
	v_mov_b32_e32 v4, s35
	s_lshl_b64 s[12:13], s[12:13], 2
	s_lshl_b64 s[44:45], s[36:37], 2
	s_delay_alu instid0(VALU_DEP_2)
	v_add_nc_u32_e32 v5, 1, v2
	s_add_nc_u64 s[10:11], s[10:11], s[12:13]
	s_add_nc_u64 s[4:5], s[4:5], s[44:45]
	global_store_b32 v2, v4, s[10:11] scale_offset
	global_store_b32 v3, v5, s[4:5]
.LBB6_43:
	s_wait_xcnt 0x0
	s_or_b32 exec_lo, exec_lo, s30
	v_mov_b64_e32 v[4:5], 0
	v_bfrev_b32_e32 v3, -2
	v_lshlrev_b32_e32 v2, 3, v0
	s_mov_b32 s5, exec_lo
	s_wait_storecnt 0x0
	s_barrier_signal -1
	s_barrier_wait -1
	v_cmpx_gt_i32_e64 s33, v0
	s_cbranch_execz .LBB6_47
; %bb.44:
	v_dual_mov_b32 v3, 0 :: v_dual_mov_b32 v8, v0
	s_lshl_b64 s[10:11], s[40:41], 3
	v_mov_b64_e32 v[4:5], 0
	s_add_nc_u64 s[10:11], s[18:19], s[10:11]
	s_delay_alu instid0(VALU_DEP_2) | instid1(SALU_CYCLE_1)
	v_add_nc_u64_e32 v[6:7], s[10:11], v[2:3]
	v_bfrev_b32_e32 v3, -2
	s_mov_b32 s10, 0
.LBB6_45:                               ; =>This Inner Loop Header: Depth=1
	global_load_b64 v[10:11], v[6:7], off
	v_cmp_eq_u32_e32 vcc_lo, 0x7fffffff, v3
	s_wait_xcnt 0x0
	v_add_nc_u64_e32 v[6:7], 0x800, v[6:7]
	s_wait_loadcnt 0x0
	v_cmp_lt_f64_e64 s11, v[4:5], |v[10:11]|
	v_and_b32_e32 v11, 0x7fffffff, v11
	s_or_b32 vcc_lo, s11, vcc_lo
	s_delay_alu instid0(VALU_DEP_1) | instid1(SALU_CYCLE_1)
	v_dual_add_nc_u32 v9, 1, v8 :: v_dual_cndmask_b32 v5, v5, v11, vcc_lo
	v_add_nc_u32_e32 v8, 0x100, v8
	s_delay_alu instid0(VALU_DEP_2) | instskip(NEXT) | instid1(VALU_DEP_2)
	v_dual_cndmask_b32 v4, v4, v10 :: v_dual_cndmask_b32 v3, v3, v9
	v_cmp_le_i32_e64 s4, s33, v8
	s_or_b32 s10, s4, s10
	s_delay_alu instid0(SALU_CYCLE_1)
	s_and_not1_b32 exec_lo, exec_lo, s10
	s_cbranch_execnz .LBB6_45
; %bb.46:
	s_or_b32 exec_lo, exec_lo, s10
.LBB6_47:
	s_delay_alu instid0(SALU_CYCLE_1)
	s_or_b32 exec_lo, exec_lo, s5
	s_cmp_lt_i32 s35, 3
	ds_store_b64 v2, v[4:5]
	ds_store_b32 v1, v3
	s_wait_dscnt 0x0
	s_barrier_signal -1
	s_barrier_wait -1
	s_cbranch_scc1 .LBB6_84
; %bb.48:
	s_mov_b32 s5, exec_lo
	v_cmpx_gt_u32_e32 0x80, v0
	s_cbranch_execz .LBB6_54
; %bb.49:
	ds_load_b64 v[6:7], v2 offset:1024
	ds_load_b32 v8, v1 offset:512
	s_mov_b32 s11, exec_lo
	s_wait_dscnt 0x1
	v_cmp_lt_f64_e64 s10, v[4:5], v[6:7]
	v_cmpx_nlt_f64_e32 v[4:5], v[6:7]
	s_cbranch_execz .LBB6_51
; %bb.50:
	v_cmp_eq_f64_e32 vcc_lo, v[4:5], v[6:7]
	s_wait_dscnt 0x0
	v_cmp_gt_i32_e64 s4, v3, v8
	s_and_not1_b32 s10, s10, exec_lo
	s_and_b32 s4, vcc_lo, s4
	s_delay_alu instid0(SALU_CYCLE_1) | instskip(NEXT) | instid1(SALU_CYCLE_1)
	s_and_b32 s4, s4, exec_lo
	s_or_b32 s10, s10, s4
.LBB6_51:
	s_or_b32 exec_lo, exec_lo, s11
	s_and_saveexec_b32 s4, s10
	s_cbranch_execz .LBB6_53
; %bb.52:
	v_mov_b64_e32 v[4:5], v[6:7]
	s_wait_dscnt 0x0
	v_mov_b32_e32 v3, v8
	ds_store_b64 v2, v[6:7]
	ds_store_b32 v1, v8
.LBB6_53:
	s_or_b32 exec_lo, exec_lo, s4
.LBB6_54:
	s_delay_alu instid0(SALU_CYCLE_1) | instskip(NEXT) | instid1(SALU_CYCLE_1)
	s_or_b32 exec_lo, exec_lo, s5
	s_mov_b32 s5, exec_lo
	s_wait_dscnt 0x0
	s_barrier_signal -1
	s_barrier_wait -1
	v_cmpx_gt_u32_e32 64, v0
	s_cbranch_execz .LBB6_60
; %bb.55:
	ds_load_b64 v[6:7], v2 offset:512
	ds_load_b32 v8, v1 offset:256
	s_mov_b32 s11, exec_lo
	s_wait_dscnt 0x1
	v_cmp_lt_f64_e64 s10, v[4:5], v[6:7]
	v_cmpx_nlt_f64_e32 v[4:5], v[6:7]
	s_cbranch_execz .LBB6_57
; %bb.56:
	v_cmp_eq_f64_e32 vcc_lo, v[4:5], v[6:7]
	s_wait_dscnt 0x0
	v_cmp_gt_i32_e64 s4, v3, v8
	s_and_not1_b32 s10, s10, exec_lo
	s_and_b32 s4, vcc_lo, s4
	s_delay_alu instid0(SALU_CYCLE_1) | instskip(NEXT) | instid1(SALU_CYCLE_1)
	s_and_b32 s4, s4, exec_lo
	s_or_b32 s10, s10, s4
.LBB6_57:
	s_or_b32 exec_lo, exec_lo, s11
	s_and_saveexec_b32 s4, s10
	s_cbranch_execz .LBB6_59
; %bb.58:
	v_mov_b64_e32 v[4:5], v[6:7]
	s_wait_dscnt 0x0
	v_mov_b32_e32 v3, v8
	ds_store_b64 v2, v[6:7]
	ds_store_b32 v1, v8
.LBB6_59:
	s_or_b32 exec_lo, exec_lo, s4
.LBB6_60:
	s_delay_alu instid0(SALU_CYCLE_1) | instskip(NEXT) | instid1(SALU_CYCLE_1)
	s_or_b32 exec_lo, exec_lo, s5
	s_mov_b32 s10, exec_lo
	s_wait_dscnt 0x0
	s_barrier_signal -1
	s_barrier_wait -1
	v_cmpx_gt_u32_e32 32, v0
	s_cbranch_execz .LBB6_83
; %bb.61:
	ds_load_b64 v[6:7], v2 offset:256
	ds_load_b32 v8, v1 offset:128
	s_mov_b32 s11, exec_lo
	s_wait_dscnt 0x1
	v_cmp_lt_f64_e64 s5, v[4:5], v[6:7]
	v_cmpx_nlt_f64_e32 v[4:5], v[6:7]
	s_cbranch_execz .LBB6_63
; %bb.62:
	v_cmp_eq_f64_e32 vcc_lo, v[4:5], v[6:7]
	s_wait_dscnt 0x0
	v_cmp_gt_i32_e64 s4, v3, v8
	s_and_not1_b32 s5, s5, exec_lo
	s_and_b32 s4, vcc_lo, s4
	s_delay_alu instid0(SALU_CYCLE_1) | instskip(NEXT) | instid1(SALU_CYCLE_1)
	s_and_b32 s4, s4, exec_lo
	s_or_b32 s5, s5, s4
.LBB6_63:
	s_or_b32 exec_lo, exec_lo, s11
	s_and_saveexec_b32 s4, s5
	s_cbranch_execz .LBB6_65
; %bb.64:
	v_mov_b64_e32 v[4:5], v[6:7]
	s_wait_dscnt 0x0
	v_mov_b32_e32 v3, v8
	ds_store_b64 v2, v[6:7]
	ds_store_b32 v1, v8
.LBB6_65:
	s_or_b32 exec_lo, exec_lo, s4
	ds_load_b64 v[6:7], v2 offset:128
	s_wait_dscnt 0x1
	ds_load_b32 v8, v1 offset:64
	s_mov_b32 s11, exec_lo
	s_wait_dscnt 0x1
	v_cmp_lt_f64_e64 s5, v[4:5], v[6:7]
	v_cmpx_nlt_f64_e32 v[4:5], v[6:7]
	s_cbranch_execz .LBB6_67
; %bb.66:
	v_cmp_eq_f64_e32 vcc_lo, v[4:5], v[6:7]
	s_wait_dscnt 0x0
	v_cmp_gt_i32_e64 s4, v3, v8
	s_and_not1_b32 s5, s5, exec_lo
	s_and_b32 s4, vcc_lo, s4
	s_delay_alu instid0(SALU_CYCLE_1) | instskip(NEXT) | instid1(SALU_CYCLE_1)
	s_and_b32 s4, s4, exec_lo
	s_or_b32 s5, s5, s4
.LBB6_67:
	s_or_b32 exec_lo, exec_lo, s11
	s_and_saveexec_b32 s4, s5
	s_cbranch_execz .LBB6_69
; %bb.68:
	v_mov_b64_e32 v[4:5], v[6:7]
	s_wait_dscnt 0x0
	v_mov_b32_e32 v3, v8
	ds_store_b64 v2, v[6:7]
	ds_store_b32 v1, v8
.LBB6_69:
	s_or_b32 exec_lo, exec_lo, s4
	ds_load_b64 v[6:7], v2 offset:64
	s_wait_dscnt 0x1
	;; [unrolled: 29-line block ×5, first 2 shown]
	ds_load_b32 v8, v1 offset:4
	s_wait_dscnt 0x1
	v_cmp_eq_f64_e32 vcc_lo, v[4:5], v[6:7]
	v_cmp_lt_f64_e64 s4, v[4:5], v[6:7]
	s_wait_dscnt 0x0
	v_cmp_gt_i32_e64 s5, v3, v8
	s_and_b32 s5, vcc_lo, s5
	s_delay_alu instid0(SALU_CYCLE_1) | instskip(NEXT) | instid1(SALU_CYCLE_1)
	s_or_b32 s4, s4, s5
	s_and_b32 exec_lo, exec_lo, s4
	s_cbranch_execz .LBB6_83
; %bb.82:
	ds_store_b64 v2, v[6:7]
	ds_store_b32 v1, v8
.LBB6_83:
	s_or_b32 exec_lo, exec_lo, s10
.LBB6_84:
	v_mov_b32_e32 v1, 0
	s_wait_dscnt 0x0
	s_barrier_signal -1
	s_barrier_wait -1
	ds_load_b64 v[2:3], v1
	s_load_b128 s[44:47], s[0:1], 0x8
	s_wait_dscnt 0x0
	v_mul_f64_e32 v[2:3], s[38:39], v[2:3]
	s_wait_kmcnt 0x0
	v_mov_b64_e32 v[4:5], s[46:47]
	s_delay_alu instid0(VALU_DEP_2)
	v_cmp_gt_f64_e32 vcc_lo, s[38:39], v[2:3]
	v_readfirstlane_b32 s4, v3
	v_readfirstlane_b32 s5, v2
	v_mov_b64_e32 v[2:3], s[44:45]
	s_and_b32 s10, vcc_lo, exec_lo
	s_cselect_b32 s11, s39, s4
	s_cselect_b32 s10, s38, s5
	s_cmp_lg_u32 s34, 0xe9
	s_mov_b32 s4, -1
	s_cbranch_scc1 .LBB6_133
; %bb.85:
	s_lshl_b64 s[30:31], s[14:15], 3
	s_lshl_b64 s[38:39], s[42:43], 3
	s_add_nc_u64 s[4:5], s[28:29], s[30:31]
	s_lshl_b32 s12, s35, 1
	s_lshl_b64 s[14:15], s[40:41], 3
	s_add_nc_u64 s[40:41], s[4:5], s[38:39]
	s_mul_i32 s4, s12, s36
	s_lshl_b64 s[8:9], s[8:9], 3
	s_ashr_i32 s5, s4, 31
	s_add_nc_u64 s[14:15], s[18:19], s[14:15]
	s_add_nc_u64 s[18:19], s[6:7], s[8:9]
	s_lshl_b64 s[6:7], s[4:5], 3
	s_lshl_b64 s[4:5], s[4:5], 2
	s_add_nc_u64 s[6:7], s[22:23], s[6:7]
	s_add_nc_u64 s[8:9], s[24:25], s[4:5]
	s_and_saveexec_b32 s13, s2
	s_cbranch_execz .LBB6_93
; %bb.86:
	v_mov_b32_e32 v7, 0
	s_cmp_gt_i32 s35, 1
	s_clause 0x1
	global_load_b64 v[8:9], v7, s[40:41]
	global_load_b64 v[4:5], v7, s[18:19]
	s_cselect_b32 s42, -1, 0
	s_cmp_lt_i32 s35, 2
	s_wait_loadcnt 0x0
	v_add_f64_e64 v[2:3], v[8:9], -|v[4:5]|
	v_and_b32_e32 v1, 0x7fffffff, v5
	s_delay_alu instid0(VALU_DEP_2) | instskip(NEXT) | instid1(VALU_DEP_1)
	v_add_f64_e64 v[10:11], v[8:9], -v[2:3]
	v_cmp_ge_f64_e32 vcc_lo, s[10:11], v[10:11]
	v_cndmask_b32_e64 v6, 0, 1, vcc_lo
	s_cbranch_scc1 .LBB6_89
; %bb.87:
	v_cmp_gt_f64_e64 s22, v[10:11], -s[10:11]
	s_xor_b32 s43, s11, 0x80000000
	s_add_nc_u64 s[4:5], s[30:31], s[38:39]
	s_mov_b32 s44, s33
	s_add_nc_u64 s[4:5], s[28:29], s[4:5]
	s_delay_alu instid0(SALU_CYCLE_1) | instskip(SKIP_1) | instid1(SALU_CYCLE_1)
	s_add_nc_u64 s[4:5], s[4:5], 8
	s_and_b32 s22, vcc_lo, s22
	v_cndmask_b32_e64 v11, v11, s43, s22
	v_cndmask_b32_e64 v10, v10, s10, s22
	s_mov_b64 s[22:23], s[14:15]
.LBB6_88:                               ; =>This Inner Loop Header: Depth=1
	s_clause 0x1
	global_load_b64 v[12:13], v7, s[22:23]
	global_load_b64 v[14:15], v7, s[4:5]
	s_add_co_i32 s44, s44, -1
	s_wait_xcnt 0x0
	s_add_nc_u64 s[4:5], s[4:5], 8
	s_add_nc_u64 s[22:23], s[22:23], 8
	s_wait_loadcnt 0x1
	v_div_scale_f64 v[16:17], null, v[10:11], v[10:11], v[12:13]
	v_div_scale_f64 v[22:23], vcc_lo, v[12:13], v[10:11], v[12:13]
	s_wait_loadcnt 0x0
	v_add_f64_e64 v[14:15], v[14:15], -v[2:3]
	s_delay_alu instid0(VALU_DEP_3) | instskip(SKIP_1) | instid1(TRANS32_DEP_1)
	v_rcp_f64_e32 v[18:19], v[16:17]
	v_nop
	v_fma_f64 v[20:21], -v[16:17], v[18:19], 1.0
	s_delay_alu instid0(VALU_DEP_1) | instskip(NEXT) | instid1(VALU_DEP_1)
	v_fmac_f64_e32 v[18:19], v[18:19], v[20:21]
	v_fma_f64 v[20:21], -v[16:17], v[18:19], 1.0
	s_delay_alu instid0(VALU_DEP_1) | instskip(NEXT) | instid1(VALU_DEP_1)
	v_fmac_f64_e32 v[18:19], v[18:19], v[20:21]
	v_mul_f64_e32 v[20:21], v[22:23], v[18:19]
	s_delay_alu instid0(VALU_DEP_1) | instskip(NEXT) | instid1(VALU_DEP_1)
	v_fma_f64 v[16:17], -v[16:17], v[20:21], v[22:23]
	v_div_fmas_f64 v[16:17], v[16:17], v[18:19], v[20:21]
	s_delay_alu instid0(VALU_DEP_1) | instskip(NEXT) | instid1(VALU_DEP_1)
	v_div_fixup_f64 v[10:11], v[16:17], v[10:11], v[12:13]
	v_add_f64_e64 v[10:11], v[14:15], -v[10:11]
	s_delay_alu instid0(VALU_DEP_1)
	v_cmp_ge_f64_e32 vcc_lo, s[10:11], v[10:11]
	v_cmp_gt_f64_e64 s45, v[10:11], -s[10:11]
	v_add_co_ci_u32_e64 v6, null, 0, v6, vcc_lo
	s_and_b32 s45, vcc_lo, s45
	s_cmp_lg_u32 s44, 0
	v_cndmask_b32_e64 v11, v11, s43, s45
	v_cndmask_b32_e64 v10, v10, s10, s45
	s_cbranch_scc1 .LBB6_88
.LBB6_89:
	v_mov_b32_e32 v5, v1
	s_and_not1_b32 vcc_lo, exec_lo, s42
	s_delay_alu instid0(VALU_DEP_1) | instskip(NEXT) | instid1(VALU_DEP_1)
	v_add_f64_e32 v[4:5], v[8:9], v[4:5]
	v_add_f64_e64 v[8:9], v[8:9], -v[4:5]
	s_delay_alu instid0(VALU_DEP_1) | instskip(NEXT) | instid1(VALU_DEP_1)
	v_cmp_ge_f64_e64 s4, s[10:11], v[8:9]
	v_cndmask_b32_e64 v7, 0, 1, s4
	s_cbranch_vccnz .LBB6_92
; %bb.90:
	v_cmp_gt_f64_e64 s5, v[8:9], -s[10:11]
	s_xor_b32 s42, s11, 0x80000000
	s_add_nc_u64 s[22:23], s[30:31], s[38:39]
	v_mov_b32_e32 v1, 0
	s_add_nc_u64 s[22:23], s[28:29], s[22:23]
	s_mov_b32 s43, s33
	s_and_b32 s4, s4, s5
	s_delay_alu instid0(SALU_CYCLE_1)
	v_cndmask_b32_e64 v9, v9, s42, s4
	v_cndmask_b32_e64 v8, v8, s10, s4
	s_add_nc_u64 s[4:5], s[22:23], 8
	s_mov_b64 s[22:23], s[14:15]
.LBB6_91:                               ; =>This Inner Loop Header: Depth=1
	s_clause 0x1
	global_load_b64 v[10:11], v1, s[22:23]
	global_load_b64 v[12:13], v1, s[4:5]
	s_add_co_i32 s43, s43, -1
	s_wait_xcnt 0x0
	s_add_nc_u64 s[4:5], s[4:5], 8
	s_add_nc_u64 s[22:23], s[22:23], 8
	s_wait_loadcnt 0x1
	v_div_scale_f64 v[14:15], null, v[8:9], v[8:9], v[10:11]
	v_div_scale_f64 v[20:21], vcc_lo, v[10:11], v[8:9], v[10:11]
	s_wait_loadcnt 0x0
	v_add_f64_e64 v[12:13], v[12:13], -v[4:5]
	s_delay_alu instid0(VALU_DEP_3) | instskip(SKIP_1) | instid1(TRANS32_DEP_1)
	v_rcp_f64_e32 v[16:17], v[14:15]
	v_nop
	v_fma_f64 v[18:19], -v[14:15], v[16:17], 1.0
	s_delay_alu instid0(VALU_DEP_1) | instskip(NEXT) | instid1(VALU_DEP_1)
	v_fmac_f64_e32 v[16:17], v[16:17], v[18:19]
	v_fma_f64 v[18:19], -v[14:15], v[16:17], 1.0
	s_delay_alu instid0(VALU_DEP_1) | instskip(NEXT) | instid1(VALU_DEP_1)
	v_fmac_f64_e32 v[16:17], v[16:17], v[18:19]
	v_mul_f64_e32 v[18:19], v[20:21], v[16:17]
	s_delay_alu instid0(VALU_DEP_1) | instskip(NEXT) | instid1(VALU_DEP_1)
	v_fma_f64 v[14:15], -v[14:15], v[18:19], v[20:21]
	v_div_fmas_f64 v[14:15], v[14:15], v[16:17], v[18:19]
	s_delay_alu instid0(VALU_DEP_1) | instskip(NEXT) | instid1(VALU_DEP_1)
	v_div_fixup_f64 v[8:9], v[14:15], v[8:9], v[10:11]
	v_add_f64_e64 v[8:9], v[12:13], -v[8:9]
	s_delay_alu instid0(VALU_DEP_1)
	v_cmp_ge_f64_e32 vcc_lo, s[10:11], v[8:9]
	v_cmp_gt_f64_e64 s44, v[8:9], -s[10:11]
	v_add_co_ci_u32_e64 v7, null, 0, v7, vcc_lo
	s_and_b32 s44, vcc_lo, s44
	s_cmp_lg_u32 s43, 0
	v_cndmask_b32_e64 v9, v9, s42, s44
	v_cndmask_b32_e64 v8, v8, s10, s44
	s_cbranch_scc1 .LBB6_91
.LBB6_92:
	v_mov_b32_e32 v1, 0
	s_clause 0x1
	global_store_b128 v1, v[2:5], s[6:7]
	global_store_b64 v1, v[6:7], s[8:9]
.LBB6_93:
	s_wait_xcnt 0x0
	s_or_b32 exec_lo, exec_lo, s13
	v_add_nc_u32_e32 v4, 1, v0
	s_mov_b32 s13, exec_lo
	s_delay_alu instid0(VALU_DEP_1)
	v_cmpx_gt_i32_e64 s33, v4
	s_cbranch_execz .LBB6_100
; %bb.94:
	s_add_nc_u64 s[4:5], s[30:31], s[38:39]
	v_mov_b32_e32 v5, 0
	s_add_nc_u64 s[4:5], s[28:29], s[4:5]
	s_mov_b32 s44, 0
	s_add_nc_u64 s[4:5], s[4:5], 8
	s_xor_b32 s45, s11, 0x80000000
.LBB6_95:                               ; =>This Loop Header: Depth=1
                                        ;     Child Loop BB6_96 Depth 2
                                        ;     Child Loop BB6_98 Depth 2
	v_lshl_add_u64 v[0:1], v[4:5], 3, s[18:19]
	s_mov_b32 s46, 1
	s_mov_b64 s[42:43], s[4:5]
	global_load_b128 v[10:13], v[0:1], off offset:-8
	s_clause 0x1
	global_load_b64 v[2:3], v4, s[40:41] scale_offset
	global_load_b64 v[8:9], v5, s[40:41]
	s_wait_loadcnt 0x2
	v_add_f64_e64 v[10:11], |v[12:13]|, |v[10:11]|
	s_wait_loadcnt 0x1
	s_wait_xcnt 0x2
	s_delay_alu instid0(VALU_DEP_1) | instskip(SKIP_1) | instid1(VALU_DEP_1)
	v_add_f64_e64 v[0:1], v[2:3], -v[10:11]
	s_wait_loadcnt 0x0
	v_add_f64_e64 v[12:13], v[8:9], -v[0:1]
	s_delay_alu instid0(VALU_DEP_1)
	v_cmp_gt_f64_e64 s22, v[12:13], -s[10:11]
	v_cmp_ge_f64_e32 vcc_lo, s[10:11], v[12:13]
	s_and_b32 s22, vcc_lo, s22
	v_cndmask_b32_e64 v6, 0, 1, vcc_lo
	v_cndmask_b32_e64 v13, v13, s45, s22
	v_cndmask_b32_e64 v12, v12, s10, s22
	s_mov_b64 s[22:23], s[14:15]
.LBB6_96:                               ;   Parent Loop BB6_95 Depth=1
                                        ; =>  This Inner Loop Header: Depth=2
	s_clause 0x1
	global_load_b64 v[14:15], v5, s[22:23]
	global_load_b64 v[16:17], v5, s[42:43]
	s_add_co_i32 s46, s46, 1
	s_wait_xcnt 0x0
	s_add_nc_u64 s[42:43], s[42:43], 8
	s_add_nc_u64 s[22:23], s[22:23], 8
	s_wait_loadcnt 0x1
	v_div_scale_f64 v[18:19], null, v[12:13], v[12:13], v[14:15]
	v_div_scale_f64 v[24:25], vcc_lo, v[14:15], v[12:13], v[14:15]
	s_wait_loadcnt 0x0
	v_add_f64_e64 v[16:17], v[16:17], -v[0:1]
	s_delay_alu instid0(VALU_DEP_3) | instskip(SKIP_1) | instid1(TRANS32_DEP_1)
	v_rcp_f64_e32 v[20:21], v[18:19]
	v_nop
	v_fma_f64 v[22:23], -v[18:19], v[20:21], 1.0
	s_delay_alu instid0(VALU_DEP_1) | instskip(NEXT) | instid1(VALU_DEP_1)
	v_fmac_f64_e32 v[20:21], v[20:21], v[22:23]
	v_fma_f64 v[22:23], -v[18:19], v[20:21], 1.0
	s_delay_alu instid0(VALU_DEP_1) | instskip(NEXT) | instid1(VALU_DEP_1)
	v_fmac_f64_e32 v[20:21], v[20:21], v[22:23]
	v_mul_f64_e32 v[22:23], v[24:25], v[20:21]
	s_delay_alu instid0(VALU_DEP_1) | instskip(NEXT) | instid1(VALU_DEP_1)
	v_fma_f64 v[18:19], -v[18:19], v[22:23], v[24:25]
	v_div_fmas_f64 v[18:19], v[18:19], v[20:21], v[22:23]
	s_delay_alu instid0(VALU_DEP_1) | instskip(NEXT) | instid1(VALU_DEP_1)
	v_div_fixup_f64 v[12:13], v[18:19], v[12:13], v[14:15]
	v_add_f64_e64 v[12:13], v[16:17], -v[12:13]
	s_delay_alu instid0(VALU_DEP_1)
	v_cmp_ge_f64_e32 vcc_lo, s[10:11], v[12:13]
	v_cmp_gt_f64_e64 s47, v[12:13], -s[10:11]
	v_add_co_ci_u32_e64 v6, null, 0, v6, vcc_lo
	s_and_b32 s47, vcc_lo, s47
	s_cmp_lg_u32 s35, s46
	v_cndmask_b32_e64 v13, v13, s45, s47
	v_cndmask_b32_e64 v12, v12, s10, s47
	s_cbranch_scc1 .LBB6_96
; %bb.97:                               ;   in Loop: Header=BB6_95 Depth=1
	v_add_f64_e32 v[2:3], v[2:3], v[10:11]
	s_mov_b64 s[42:43], s[4:5]
	s_mov_b32 s46, s33
	s_delay_alu instid0(VALU_DEP_1) | instskip(NEXT) | instid1(VALU_DEP_1)
	v_add_f64_e64 v[8:9], v[8:9], -v[2:3]
	v_cmp_gt_f64_e64 s22, v[8:9], -s[10:11]
	v_cmp_ge_f64_e32 vcc_lo, s[10:11], v[8:9]
	s_and_b32 s22, vcc_lo, s22
	v_cndmask_b32_e64 v7, 0, 1, vcc_lo
	v_cndmask_b32_e64 v9, v9, s45, s22
	v_cndmask_b32_e64 v8, v8, s10, s22
	s_mov_b64 s[22:23], s[14:15]
.LBB6_98:                               ;   Parent Loop BB6_95 Depth=1
                                        ; =>  This Inner Loop Header: Depth=2
	s_clause 0x1
	global_load_b64 v[10:11], v5, s[22:23]
	global_load_b64 v[12:13], v5, s[42:43]
	s_add_co_i32 s46, s46, -1
	s_wait_xcnt 0x0
	s_add_nc_u64 s[42:43], s[42:43], 8
	s_add_nc_u64 s[22:23], s[22:23], 8
	s_wait_loadcnt 0x1
	v_div_scale_f64 v[14:15], null, v[8:9], v[8:9], v[10:11]
	v_div_scale_f64 v[20:21], vcc_lo, v[10:11], v[8:9], v[10:11]
	s_wait_loadcnt 0x0
	v_add_f64_e64 v[12:13], v[12:13], -v[2:3]
	s_delay_alu instid0(VALU_DEP_3) | instskip(SKIP_1) | instid1(TRANS32_DEP_1)
	v_rcp_f64_e32 v[16:17], v[14:15]
	v_nop
	v_fma_f64 v[18:19], -v[14:15], v[16:17], 1.0
	s_delay_alu instid0(VALU_DEP_1) | instskip(NEXT) | instid1(VALU_DEP_1)
	v_fmac_f64_e32 v[16:17], v[16:17], v[18:19]
	v_fma_f64 v[18:19], -v[14:15], v[16:17], 1.0
	s_delay_alu instid0(VALU_DEP_1) | instskip(NEXT) | instid1(VALU_DEP_1)
	v_fmac_f64_e32 v[16:17], v[16:17], v[18:19]
	v_mul_f64_e32 v[18:19], v[20:21], v[16:17]
	s_delay_alu instid0(VALU_DEP_1) | instskip(NEXT) | instid1(VALU_DEP_1)
	v_fma_f64 v[14:15], -v[14:15], v[18:19], v[20:21]
	v_div_fmas_f64 v[14:15], v[14:15], v[16:17], v[18:19]
	s_delay_alu instid0(VALU_DEP_1) | instskip(NEXT) | instid1(VALU_DEP_1)
	v_div_fixup_f64 v[8:9], v[14:15], v[8:9], v[10:11]
	v_add_f64_e64 v[8:9], v[12:13], -v[8:9]
	s_delay_alu instid0(VALU_DEP_1)
	v_cmp_ge_f64_e32 vcc_lo, s[10:11], v[8:9]
	v_cmp_gt_f64_e64 s47, v[8:9], -s[10:11]
	v_add_co_ci_u32_e64 v7, null, 0, v7, vcc_lo
	s_and_b32 s47, vcc_lo, s47
	s_cmp_lg_u32 s46, 0
	v_cndmask_b32_e64 v9, v9, s45, s47
	v_cndmask_b32_e64 v8, v8, s10, s47
	s_cbranch_scc1 .LBB6_98
; %bb.99:                               ;   in Loop: Header=BB6_95 Depth=1
	v_dual_mov_b32 v9, v5 :: v_dual_lshlrev_b32 v8, 1, v4
	v_add_nc_u32_e32 v4, 0x100, v4
	s_delay_alu instid0(VALU_DEP_2) | instskip(NEXT) | instid1(VALU_DEP_2)
	v_lshl_add_u64 v[10:11], v[8:9], 3, s[6:7]
	v_cmp_le_i32_e32 vcc_lo, s33, v4
	v_lshl_add_u64 v[8:9], v[8:9], 2, s[8:9]
	global_store_b128 v[10:11], v[0:3], off
	global_store_b64 v[8:9], v[6:7], off
	s_or_b32 s44, vcc_lo, s44
	s_wait_xcnt 0x0
	s_and_not1_b32 exec_lo, exec_lo, s44
	s_cbranch_execnz .LBB6_95
.LBB6_100:
	s_or_b32 exec_lo, exec_lo, s13
	s_and_saveexec_b32 s22, s3
	s_cbranch_execz .LBB6_108
; %bb.101:
	v_dual_mov_b32 v0, s35 :: v_dual_mov_b32 v12, 0
	s_cmp_gt_i32 s35, 1
	s_clause 0x1
	global_load_b64 v[2:3], v0, s[40:41] offset:-8 scale_offset
	global_load_b64 v[6:7], v0, s[18:19] offset:-16 scale_offset
	global_load_b64 v[8:9], v12, s[40:41]
	s_cselect_b32 s13, -1, 0
	s_cmp_lt_i32 s35, 2
	s_wait_loadcnt 0x1
	s_wait_xcnt 0x1
	v_add_f64_e64 v[0:1], v[2:3], -|v[6:7]|
	v_and_b32_e32 v5, 0x7fffffff, v7
	s_wait_loadcnt 0x0
	s_delay_alu instid0(VALU_DEP_2) | instskip(NEXT) | instid1(VALU_DEP_1)
	v_add_f64_e64 v[10:11], v[8:9], -v[0:1]
	v_cmp_ge_f64_e32 vcc_lo, s[10:11], v[10:11]
	v_cndmask_b32_e64 v4, 0, 1, vcc_lo
	s_cbranch_scc1 .LBB6_104
; %bb.102:
	v_cmp_gt_f64_e64 s18, v[10:11], -s[10:11]
	s_xor_b32 s3, s11, 0x80000000
	s_add_nc_u64 s[4:5], s[30:31], s[38:39]
	s_mov_b32 s23, s33
	s_add_nc_u64 s[4:5], s[28:29], s[4:5]
	s_delay_alu instid0(SALU_CYCLE_1) | instskip(SKIP_1) | instid1(SALU_CYCLE_1)
	s_add_nc_u64 s[4:5], s[4:5], 8
	s_and_b32 s18, vcc_lo, s18
	v_cndmask_b32_e64 v11, v11, s3, s18
	v_cndmask_b32_e64 v10, v10, s10, s18
	s_mov_b64 s[18:19], s[14:15]
.LBB6_103:                              ; =>This Inner Loop Header: Depth=1
	s_clause 0x1
	global_load_b64 v[14:15], v12, s[18:19]
	global_load_b64 v[16:17], v12, s[4:5]
	s_add_co_i32 s23, s23, -1
	s_wait_xcnt 0x0
	s_add_nc_u64 s[4:5], s[4:5], 8
	s_add_nc_u64 s[18:19], s[18:19], 8
	s_wait_loadcnt 0x1
	v_div_scale_f64 v[18:19], null, v[10:11], v[10:11], v[14:15]
	v_div_scale_f64 v[24:25], vcc_lo, v[14:15], v[10:11], v[14:15]
	s_wait_loadcnt 0x0
	v_add_f64_e64 v[16:17], v[16:17], -v[0:1]
	s_delay_alu instid0(VALU_DEP_3) | instskip(SKIP_1) | instid1(TRANS32_DEP_1)
	v_rcp_f64_e32 v[20:21], v[18:19]
	v_nop
	v_fma_f64 v[22:23], -v[18:19], v[20:21], 1.0
	s_delay_alu instid0(VALU_DEP_1) | instskip(NEXT) | instid1(VALU_DEP_1)
	v_fmac_f64_e32 v[20:21], v[20:21], v[22:23]
	v_fma_f64 v[22:23], -v[18:19], v[20:21], 1.0
	s_delay_alu instid0(VALU_DEP_1) | instskip(NEXT) | instid1(VALU_DEP_1)
	v_fmac_f64_e32 v[20:21], v[20:21], v[22:23]
	v_mul_f64_e32 v[22:23], v[24:25], v[20:21]
	s_delay_alu instid0(VALU_DEP_1) | instskip(NEXT) | instid1(VALU_DEP_1)
	v_fma_f64 v[18:19], -v[18:19], v[22:23], v[24:25]
	v_div_fmas_f64 v[18:19], v[18:19], v[20:21], v[22:23]
	s_delay_alu instid0(VALU_DEP_1) | instskip(NEXT) | instid1(VALU_DEP_1)
	v_div_fixup_f64 v[10:11], v[18:19], v[10:11], v[14:15]
	v_add_f64_e64 v[10:11], v[16:17], -v[10:11]
	s_delay_alu instid0(VALU_DEP_1)
	v_cmp_ge_f64_e32 vcc_lo, s[10:11], v[10:11]
	v_cmp_gt_f64_e64 s40, v[10:11], -s[10:11]
	v_add_co_ci_u32_e64 v4, null, 0, v4, vcc_lo
	s_and_b32 s40, vcc_lo, s40
	s_cmp_lg_u32 s23, 0
	v_cndmask_b32_e64 v11, v11, s3, s40
	v_cndmask_b32_e64 v10, v10, s10, s40
	s_cbranch_scc1 .LBB6_103
.LBB6_104:
	v_mov_b32_e32 v7, v5
	s_and_not1_b32 vcc_lo, exec_lo, s13
	s_delay_alu instid0(VALU_DEP_1) | instskip(NEXT) | instid1(VALU_DEP_1)
	v_add_f64_e32 v[2:3], v[2:3], v[6:7]
	v_add_f64_e64 v[6:7], v[8:9], -v[2:3]
	s_delay_alu instid0(VALU_DEP_1) | instskip(NEXT) | instid1(VALU_DEP_1)
	v_cmp_ge_f64_e64 s3, s[10:11], v[6:7]
	v_cndmask_b32_e64 v5, 0, 1, s3
	s_cbranch_vccnz .LBB6_107
; %bb.105:
	v_cmp_gt_f64_e64 s18, v[6:7], -s[10:11]
	s_xor_b32 s13, s11, 0x80000000
	s_add_nc_u64 s[4:5], s[30:31], s[38:39]
	v_mov_b32_e32 v8, 0
	s_add_nc_u64 s[4:5], s[28:29], s[4:5]
	s_delay_alu instid0(SALU_CYCLE_1) | instskip(SKIP_1) | instid1(SALU_CYCLE_1)
	s_add_nc_u64 s[4:5], s[4:5], 8
	s_and_b32 s3, s3, s18
	v_cndmask_b32_e64 v7, v7, s13, s3
	v_cndmask_b32_e64 v6, v6, s10, s3
.LBB6_106:                              ; =>This Inner Loop Header: Depth=1
	s_clause 0x1
	global_load_b64 v[10:11], v8, s[14:15]
	global_load_b64 v[12:13], v8, s[4:5]
	s_add_co_i32 s33, s33, -1
	s_wait_xcnt 0x0
	s_add_nc_u64 s[4:5], s[4:5], 8
	s_add_nc_u64 s[14:15], s[14:15], 8
	s_wait_loadcnt 0x1
	v_div_scale_f64 v[14:15], null, v[6:7], v[6:7], v[10:11]
	v_div_scale_f64 v[20:21], vcc_lo, v[10:11], v[6:7], v[10:11]
	s_wait_loadcnt 0x0
	v_add_f64_e64 v[12:13], v[12:13], -v[2:3]
	s_delay_alu instid0(VALU_DEP_3) | instskip(SKIP_1) | instid1(TRANS32_DEP_1)
	v_rcp_f64_e32 v[16:17], v[14:15]
	v_nop
	v_fma_f64 v[18:19], -v[14:15], v[16:17], 1.0
	s_delay_alu instid0(VALU_DEP_1) | instskip(NEXT) | instid1(VALU_DEP_1)
	v_fmac_f64_e32 v[16:17], v[16:17], v[18:19]
	v_fma_f64 v[18:19], -v[14:15], v[16:17], 1.0
	s_delay_alu instid0(VALU_DEP_1) | instskip(NEXT) | instid1(VALU_DEP_1)
	v_fmac_f64_e32 v[16:17], v[16:17], v[18:19]
	v_mul_f64_e32 v[18:19], v[20:21], v[16:17]
	s_delay_alu instid0(VALU_DEP_1) | instskip(NEXT) | instid1(VALU_DEP_1)
	v_fma_f64 v[14:15], -v[14:15], v[18:19], v[20:21]
	v_div_fmas_f64 v[14:15], v[14:15], v[16:17], v[18:19]
	s_delay_alu instid0(VALU_DEP_1) | instskip(NEXT) | instid1(VALU_DEP_1)
	v_div_fixup_f64 v[6:7], v[14:15], v[6:7], v[10:11]
	v_add_f64_e64 v[6:7], v[12:13], -v[6:7]
	s_delay_alu instid0(VALU_DEP_1)
	v_cmp_ge_f64_e32 vcc_lo, s[10:11], v[6:7]
	v_cmp_gt_f64_e64 s3, v[6:7], -s[10:11]
	v_add_co_ci_u32_e64 v5, null, 0, v5, vcc_lo
	s_and_b32 s3, vcc_lo, s3
	s_cmp_lg_u32 s33, 0
	v_cndmask_b32_e64 v7, v7, s13, s3
	v_cndmask_b32_e64 v6, v6, s10, s3
	s_cbranch_scc1 .LBB6_106
.LBB6_107:
	s_ashr_i32 s13, s12, 31
	v_mov_b32_e32 v6, 0
	s_lshl_b64 s[4:5], s[12:13], 3
	s_lshl_b64 s[14:15], s[12:13], 2
	s_add_nc_u64 s[4:5], s[6:7], s[4:5]
	s_add_nc_u64 s[14:15], s[8:9], s[14:15]
	s_clause 0x1
	global_store_b128 v6, v[0:3], s[4:5] offset:-16
	global_store_b64 v6, v[4:5], s[14:15] offset:-8
.LBB6_108:
	s_wait_xcnt 0x0
	s_or_b32 exec_lo, exec_lo, s22
	s_mov_b32 s4, 0
	s_wait_storecnt 0x0
	s_barrier_signal -1
	s_barrier_wait -1
                                        ; implicit-def: $vgpr4_vgpr5
                                        ; implicit-def: $vgpr2_vgpr3
	s_and_saveexec_b32 s3, s2
	s_cbranch_execz .LBB6_132
; %bb.109:
	s_cmp_gt_i32 s35, 0
	s_mov_b32 s4, 1
	s_cselect_b32 s13, -1, 0
	s_cmp_lt_i32 s35, 1
	s_cbranch_scc1 .LBB6_117
; %bb.110:
	v_mov_b32_e32 v4, 0
	s_cmp_lg_u64 s[24:25], 0
	s_add_nc_u64 s[14:15], s[6:7], 8
	s_cselect_b32 s28, -1, 0
	s_branch .LBB6_112
.LBB6_111:                              ;   in Loop: Header=BB6_112 Depth=1
	s_add_co_i32 s4, s4, 1
	s_add_nc_u64 s[14:15], s[14:15], 8
	s_cmp_lg_u32 s4, s12
	s_cbranch_scc0 .LBB6_117
.LBB6_112:                              ; =>This Loop Header: Depth=1
                                        ;     Child Loop BB6_113 Depth 2
	s_wait_xcnt 0x1
	v_mov_b32_e32 v0, s4
	s_ashr_i32 s5, s4, 31
	s_add_co_i32 s19, s4, -1
	s_wait_xcnt 0x0
	s_lshl_b64 s[22:23], s[4:5], 3
	s_mov_b64 s[24:25], s[14:15]
	global_load_b64 v[0:1], v0, s[6:7] offset:-8 scale_offset
	s_add_nc_u64 s[22:23], s[6:7], s[22:23]
	s_mov_b32 s29, s4
	s_mov_b32 s18, s19
	s_wait_loadcnt 0x0
	v_mov_b64_e32 v[2:3], v[0:1]
.LBB6_113:                              ;   Parent Loop BB6_112 Depth=1
                                        ; =>  This Inner Loop Header: Depth=2
	global_load_b64 v[6:7], v4, s[24:25]
	s_wait_xcnt 0x0
	s_add_nc_u64 s[24:25], s[24:25], 8
	s_wait_loadcnt 0x0
	v_cmp_lt_f64_e32 vcc_lo, v[6:7], v[2:3]
	v_dual_cndmask_b32 v3, v3, v7 :: v_dual_cndmask_b32 v2, v2, v6
	s_and_b32 s30, vcc_lo, exec_lo
	s_cselect_b32 s18, s29, s18
	s_add_co_i32 s29, s29, 1
	s_delay_alu instid0(SALU_CYCLE_1)
	s_cmp_eq_u32 s12, s29
	s_cbranch_scc0 .LBB6_113
; %bb.114:                              ;   in Loop: Header=BB6_112 Depth=1
	s_cmp_lg_u32 s18, s19
	s_cbranch_scc0 .LBB6_111
; %bb.115:                              ;   in Loop: Header=BB6_112 Depth=1
	v_mov_b32_e32 v5, s18
	s_and_not1_b32 vcc_lo, exec_lo, s28
	s_clause 0x1
	global_store_b64 v5, v[0:1], s[6:7] scale_offset
	global_store_b64 v4, v[2:3], s[22:23] offset:-8
	s_cbranch_vccnz .LBB6_111
; %bb.116:                              ;   in Loop: Header=BB6_112 Depth=1
	s_ashr_i32 s19, s18, 31
	s_wait_xcnt 0x0
	s_lshl_b64 s[22:23], s[4:5], 2
	s_lshl_b64 s[18:19], s[18:19], 2
	s_add_nc_u64 s[22:23], s[8:9], s[22:23]
	s_add_nc_u64 s[18:19], s[8:9], s[18:19]
	s_clause 0x1
	global_load_b32 v0, v4, s[22:23] offset:-4
	global_load_b32 v1, v4, s[18:19]
	s_wait_loadcnt 0x1
	global_store_b32 v4, v0, s[18:19]
	s_wait_loadcnt 0x0
	global_store_b32 v4, v1, s[22:23] offset:-4
	s_branch .LBB6_111
.LBB6_117:
	s_wait_xcnt 0x0
	v_dual_mov_b32 v1, 0 :: v_dual_mov_b32 v10, s12
	v_cvt_f64_i32_e32 v[8:9], s35
	s_load_b64 s[0:1], s[0:1], 0x18
	v_cndmask_b32_e64 v0, 0, 1, s13
	s_clause 0x1
	global_load_b64 v[2:3], v1, s[6:7]
	global_load_b64 v[4:5], v10, s[6:7] offset:-8 scale_offset
	s_wait_loadcnt 0x0
	v_cmp_lt_f64_e64 vcc_lo, |v[2:3]|, |v[4:5]|
	v_dual_cndmask_b32 v7, v3, v5 :: v_dual_cndmask_b32 v6, v2, v4
	s_and_not1_b32 vcc_lo, exec_lo, s13
	s_delay_alu instid0(VALU_DEP_1) | instskip(NEXT) | instid1(VALU_DEP_1)
	v_mul_f64_e64 v[6:7], s[26:27], |v[6:7]|
	v_fma_f64 v[2:3], -v[6:7], v[8:9], v[2:3]
	v_fmac_f64_e32 v[4:5], v[6:7], v[8:9]
	s_delay_alu instid0(VALU_DEP_2) | instskip(NEXT) | instid1(VALU_DEP_2)
	v_add_f64_e64 v[2:3], v[2:3], -s[10:11]
	v_add_f64_e32 v[4:5], s[10:11], v[4:5]
	s_clause 0x1
	global_store_b64 v1, v[2:3], s[6:7]
	global_store_b64 v10, v[4:5], s[6:7] offset:-8 scale_offset
	s_cbranch_vccnz .LBB6_123
; %bb.118:
	s_max_i32 s13, s12, 2
	s_add_nc_u64 s[4:5], s[8:9], 4
	s_add_co_i32 s13, s13, -1
	s_mov_b32 s15, 0
	s_branch .LBB6_120
.LBB6_119:                              ;   in Loop: Header=BB6_120 Depth=1
	s_add_co_i32 s15, s15, 1
	s_wait_xcnt 0x0
	s_add_nc_u64 s[4:5], s[4:5], 4
	s_cmp_eq_u32 s13, s15
	s_mov_b32 s14, s13
	s_cselect_b32 s18, -1, 0
	s_delay_alu instid0(SALU_CYCLE_1)
	s_and_not1_b32 vcc_lo, exec_lo, s18
	s_cbranch_vccz .LBB6_122
.LBB6_120:                              ; =>This Inner Loop Header: Depth=1
	global_load_b32 v2, v1, s[4:5]
	s_wait_loadcnt 0x0
	s_wait_kmcnt 0x0
	v_cmp_le_i32_e32 vcc_lo, s0, v2
	s_cbranch_vccz .LBB6_119
; %bb.121:
	s_mov_b32 s14, s15
                                        ; implicit-def: $sgpr4_sgpr5
.LBB6_122:
	s_mov_b32 s15, 0
	s_branch .LBB6_124
.LBB6_123:
	s_mov_b64 s[14:15], 0
.LBB6_124:
	s_wait_xcnt 0x0
	v_mov_b32_e32 v1, 0
	s_lshl_b64 s[4:5], s[14:15], 3
	v_cmp_ne_u32_e32 vcc_lo, 1, v0
	s_add_nc_u64 s[4:5], s[6:7], s[4:5]
	s_mov_b32 s13, 1
	global_load_b64 v[2:3], v1, s[4:5]
	s_cbranch_vccnz .LBB6_130
; %bb.125:
	s_max_i32 s12, s12, 2
	s_wait_xcnt 0x0
	s_add_nc_u64 s[4:5], s[8:9], 4
	s_add_co_i32 s14, s12, -1
	s_branch .LBB6_127
.LBB6_126:
	s_mov_b32 s0, s13
                                        ; implicit-def: $sgpr4_sgpr5
	s_branch .LBB6_129
.LBB6_127:                              ; =>This Inner Loop Header: Depth=1
	global_load_b32 v0, v1, s[4:5]
	s_wait_loadcnt 0x0
	s_wait_kmcnt 0x0
	v_cmp_gt_i32_e32 vcc_lo, s1, v0
	s_cbranch_vccz .LBB6_126
; %bb.128:                              ;   in Loop: Header=BB6_127 Depth=1
	s_add_co_i32 s13, s13, 1
	s_wait_xcnt 0x0
	s_add_nc_u64 s[4:5], s[4:5], 4
	s_cmp_eq_u32 s12, s13
	s_mov_b32 s0, s14
	s_cselect_b32 s8, -1, 0
	s_delay_alu instid0(SALU_CYCLE_1)
	s_and_not1_b32 vcc_lo, exec_lo, s8
	s_cbranch_vccnz .LBB6_127
.LBB6_129:
	s_ashr_i32 s1, s0, 31
	s_branch .LBB6_131
.LBB6_130:
	s_wait_kmcnt 0x0
	s_mov_b64 s[0:1], 0
.LBB6_131:
	v_mov_b32_e32 v0, 0
	s_lshl_b64 s[0:1], s[0:1], 3
	s_wait_xcnt 0x0
	s_mov_b32 s4, exec_lo
	s_add_nc_u64 s[0:1], s[6:7], s[0:1]
	global_load_b64 v[4:5], v0, s[0:1]
.LBB6_132:
	s_wait_xcnt 0x0
	s_or_b32 exec_lo, exec_lo, s3
.LBB6_133:
	s_and_saveexec_b32 s0, s4
	s_cbranch_execz .LBB6_136
; %bb.134:
	s_and_b32 exec_lo, exec_lo, s2
	s_cbranch_execz .LBB6_136
; %bb.135:
	s_lshl_b32 s0, s36, 1
	s_lshl_b64 s[2:3], s[36:37], 3
	s_ashr_i32 s1, s0, 31
	v_mov_b64_e32 v[0:1], s[10:11]
	s_lshl_b64 s[0:1], s[0:1], 3
	s_cmp_eq_u32 s34, 0xe7
	v_mov_b32_e32 v6, 0
	s_cselect_b32 s4, -1, 0
	s_add_nc_u64 s[2:3], s[16:17], s[2:3]
	s_wait_loadcnt 0x0
	v_cndmask_b32_e64 v5, v5, 0, s4
	v_cndmask_b32_e64 v4, v4, 0, s4
	;; [unrolled: 1-line block ×4, first 2 shown]
	s_add_nc_u64 s[0:1], s[20:21], s[0:1]
	s_clause 0x1
	global_store_b64 v6, v[0:1], s[2:3]
	global_store_b128 v6, v[2:5], s[0:1]
.LBB6_136:
	s_endpgm
	.section	.rodata,"a",@progbits
	.p2align	6, 0x0
	.amdhsa_kernel _ZN9rocsolver6v33100L22stebz_splitting_kernelIdPdEEv15rocblas_erange_iT_S4_iiT0_iiS5_iiPiPS4_lS6_lS6_S7_S7_S7_S7_S6_S4_S4_
		.amdhsa_group_segment_fixed_size 3072
		.amdhsa_private_segment_fixed_size 0
		.amdhsa_kernarg_size 168
		.amdhsa_user_sgpr_count 2
		.amdhsa_user_sgpr_dispatch_ptr 0
		.amdhsa_user_sgpr_queue_ptr 0
		.amdhsa_user_sgpr_kernarg_segment_ptr 1
		.amdhsa_user_sgpr_dispatch_id 0
		.amdhsa_user_sgpr_kernarg_preload_length 0
		.amdhsa_user_sgpr_kernarg_preload_offset 0
		.amdhsa_user_sgpr_private_segment_size 0
		.amdhsa_wavefront_size32 1
		.amdhsa_uses_dynamic_stack 0
		.amdhsa_enable_private_segment 0
		.amdhsa_system_sgpr_workgroup_id_x 1
		.amdhsa_system_sgpr_workgroup_id_y 1
		.amdhsa_system_sgpr_workgroup_id_z 0
		.amdhsa_system_sgpr_workgroup_info 0
		.amdhsa_system_vgpr_workitem_id 0
		.amdhsa_next_free_vgpr 34
		.amdhsa_next_free_sgpr 58
		.amdhsa_named_barrier_count 0
		.amdhsa_reserve_vcc 1
		.amdhsa_float_round_mode_32 0
		.amdhsa_float_round_mode_16_64 0
		.amdhsa_float_denorm_mode_32 3
		.amdhsa_float_denorm_mode_16_64 3
		.amdhsa_fp16_overflow 0
		.amdhsa_memory_ordered 1
		.amdhsa_forward_progress 1
		.amdhsa_inst_pref_size 55
		.amdhsa_round_robin_scheduling 0
		.amdhsa_exception_fp_ieee_invalid_op 0
		.amdhsa_exception_fp_denorm_src 0
		.amdhsa_exception_fp_ieee_div_zero 0
		.amdhsa_exception_fp_ieee_overflow 0
		.amdhsa_exception_fp_ieee_underflow 0
		.amdhsa_exception_fp_ieee_inexact 0
		.amdhsa_exception_int_div_zero 0
	.end_amdhsa_kernel
	.section	.text._ZN9rocsolver6v33100L22stebz_splitting_kernelIdPdEEv15rocblas_erange_iT_S4_iiT0_iiS5_iiPiPS4_lS6_lS6_S7_S7_S7_S7_S6_S4_S4_,"axG",@progbits,_ZN9rocsolver6v33100L22stebz_splitting_kernelIdPdEEv15rocblas_erange_iT_S4_iiT0_iiS5_iiPiPS4_lS6_lS6_S7_S7_S7_S7_S6_S4_S4_,comdat
.Lfunc_end6:
	.size	_ZN9rocsolver6v33100L22stebz_splitting_kernelIdPdEEv15rocblas_erange_iT_S4_iiT0_iiS5_iiPiPS4_lS6_lS6_S7_S7_S7_S7_S6_S4_S4_, .Lfunc_end6-_ZN9rocsolver6v33100L22stebz_splitting_kernelIdPdEEv15rocblas_erange_iT_S4_iiT0_iiS5_iiPiPS4_lS6_lS6_S7_S7_S7_S7_S6_S4_S4_
                                        ; -- End function
	.set _ZN9rocsolver6v33100L22stebz_splitting_kernelIdPdEEv15rocblas_erange_iT_S4_iiT0_iiS5_iiPiPS4_lS6_lS6_S7_S7_S7_S7_S6_S4_S4_.num_vgpr, 34
	.set _ZN9rocsolver6v33100L22stebz_splitting_kernelIdPdEEv15rocblas_erange_iT_S4_iiT0_iiS5_iiPiPS4_lS6_lS6_S7_S7_S7_S7_S6_S4_S4_.num_agpr, 0
	.set _ZN9rocsolver6v33100L22stebz_splitting_kernelIdPdEEv15rocblas_erange_iT_S4_iiT0_iiS5_iiPiPS4_lS6_lS6_S7_S7_S7_S7_S6_S4_S4_.numbered_sgpr, 58
	.set _ZN9rocsolver6v33100L22stebz_splitting_kernelIdPdEEv15rocblas_erange_iT_S4_iiT0_iiS5_iiPiPS4_lS6_lS6_S7_S7_S7_S7_S6_S4_S4_.num_named_barrier, 0
	.set _ZN9rocsolver6v33100L22stebz_splitting_kernelIdPdEEv15rocblas_erange_iT_S4_iiT0_iiS5_iiPiPS4_lS6_lS6_S7_S7_S7_S7_S6_S4_S4_.private_seg_size, 0
	.set _ZN9rocsolver6v33100L22stebz_splitting_kernelIdPdEEv15rocblas_erange_iT_S4_iiT0_iiS5_iiPiPS4_lS6_lS6_S7_S7_S7_S7_S6_S4_S4_.uses_vcc, 1
	.set _ZN9rocsolver6v33100L22stebz_splitting_kernelIdPdEEv15rocblas_erange_iT_S4_iiT0_iiS5_iiPiPS4_lS6_lS6_S7_S7_S7_S7_S6_S4_S4_.uses_flat_scratch, 0
	.set _ZN9rocsolver6v33100L22stebz_splitting_kernelIdPdEEv15rocblas_erange_iT_S4_iiT0_iiS5_iiPiPS4_lS6_lS6_S7_S7_S7_S7_S6_S4_S4_.has_dyn_sized_stack, 0
	.set _ZN9rocsolver6v33100L22stebz_splitting_kernelIdPdEEv15rocblas_erange_iT_S4_iiT0_iiS5_iiPiPS4_lS6_lS6_S7_S7_S7_S7_S6_S4_S4_.has_recursion, 0
	.set _ZN9rocsolver6v33100L22stebz_splitting_kernelIdPdEEv15rocblas_erange_iT_S4_iiT0_iiS5_iiPiPS4_lS6_lS6_S7_S7_S7_S7_S6_S4_S4_.has_indirect_call, 0
	.section	.AMDGPU.csdata,"",@progbits
; Kernel info:
; codeLenInByte = 6988
; TotalNumSgprs: 60
; NumVgprs: 34
; ScratchSize: 0
; MemoryBound: 0
; FloatMode: 240
; IeeeMode: 1
; LDSByteSize: 3072 bytes/workgroup (compile time only)
; SGPRBlocks: 0
; VGPRBlocks: 2
; NumSGPRsForWavesPerEU: 60
; NumVGPRsForWavesPerEU: 34
; NamedBarCnt: 0
; Occupancy: 16
; WaveLimiterHint : 0
; COMPUTE_PGM_RSRC2:SCRATCH_EN: 0
; COMPUTE_PGM_RSRC2:USER_SGPR: 2
; COMPUTE_PGM_RSRC2:TRAP_HANDLER: 0
; COMPUTE_PGM_RSRC2:TGID_X_EN: 1
; COMPUTE_PGM_RSRC2:TGID_Y_EN: 1
; COMPUTE_PGM_RSRC2:TGID_Z_EN: 0
; COMPUTE_PGM_RSRC2:TIDIG_COMP_CNT: 0
	.section	.text._ZN9rocsolver6v33100L22stebz_bisection_kernelIdPdEEv15rocblas_erange_iT_T0_iiS5_iiPiPS4_lS6_lS6_lS6_S6_S7_S7_S7_S7_S6_S4_S4_,"axG",@progbits,_ZN9rocsolver6v33100L22stebz_bisection_kernelIdPdEEv15rocblas_erange_iT_T0_iiS5_iiPiPS4_lS6_lS6_lS6_S6_S7_S7_S7_S7_S6_S4_S4_,comdat
	.globl	_ZN9rocsolver6v33100L22stebz_bisection_kernelIdPdEEv15rocblas_erange_iT_T0_iiS5_iiPiPS4_lS6_lS6_lS6_S6_S7_S7_S7_S7_S6_S4_S4_ ; -- Begin function _ZN9rocsolver6v33100L22stebz_bisection_kernelIdPdEEv15rocblas_erange_iT_T0_iiS5_iiPiPS4_lS6_lS6_lS6_S6_S7_S7_S7_S7_S6_S4_S4_
	.p2align	8
	.type	_ZN9rocsolver6v33100L22stebz_bisection_kernelIdPdEEv15rocblas_erange_iT_T0_iiS5_iiPiPS4_lS6_lS6_lS6_S6_S7_S7_S7_S7_S6_S4_S4_,@function
_ZN9rocsolver6v33100L22stebz_bisection_kernelIdPdEEv15rocblas_erange_iT_T0_iiS5_iiPiPS4_lS6_lS6_lS6_S6_S7_S7_S7_S7_S6_S4_S4_: ; @_ZN9rocsolver6v33100L22stebz_bisection_kernelIdPdEEv15rocblas_erange_iT_T0_iiS5_iiPiPS4_lS6_lS6_lS6_S6_S7_S7_S7_S7_S6_S4_S4_
; %bb.0:
	s_load_b512 s[4:19], s[0:1], 0x30
	s_bfe_u32 s2, ttmp6, 0x4000c
	s_bfe_u32 s20, ttmp6, 0x40010
	s_add_co_i32 s2, s2, 1
	s_and_b32 s3, ttmp6, 15
	s_mul_i32 s2, ttmp9, s2
	s_add_co_i32 s20, s20, 1
	s_add_co_i32 s3, s3, s2
	s_mul_i32 s2, ttmp7, s20
	s_bfe_u32 s20, ttmp6, 0x40004
	s_getreg_b32 s21, hwreg(HW_REG_IB_STS2, 6, 4)
	s_add_co_i32 s20, s20, s2
	s_cmp_eq_u32 s21, 0
	s_cselect_b32 s54, ttmp7, s20
	s_cselect_b32 s28, ttmp9, s3
	s_ashr_i32 s55, s54, 31
	s_delay_alu instid0(SALU_CYCLE_1)
	s_lshl_b64 s[2:3], s[54:55], 2
	s_wait_kmcnt 0x0
	s_add_nc_u64 s[4:5], s[4:5], s[2:3]
	s_load_b32 s33, s[4:5], 0x0
	s_wait_kmcnt 0x0
	s_cmp_ge_i32 s28, s33
	s_cbranch_scc1 .LBB7_91
; %bb.1:
	s_load_b256 s[44:51], s[0:1], 0x70
	s_lshl_b64 s[4:5], s[54:55], 3
	s_mov_b64 s[34:35], 0x3fe5555555555555
	s_mul_u64 s[12:13], s[12:13], s[54:55]
	s_lshl_b32 s56, s54, 1
	s_mul_u64 s[16:17], s[16:17], s[54:55]
	s_ashr_i32 s57, s56, 31
	s_lshl_b64 s[16:17], s[16:17], 2
	v_and_b32_e32 v24, 0x7c, v0
	s_add_nc_u64 s[14:15], s[14:15], s[16:17]
	v_lshl_or_b32 v23, v0, 4, 0x1000
                                        ; implicit-def: $vgpr27
	v_dual_mov_b32 v25, 0 :: v_dual_lshlrev_b32 v22, 5, v0
	v_mov_b32_e32 v26, 1
	s_wait_kmcnt 0x0
	s_add_nc_u64 s[4:5], s[46:47], s[4:5]
	s_mov_b64 s[46:47], 0x3fe62e42fefa39ef
	s_load_b64 s[30:31], s[4:5], 0x0
	s_clause 0x1
	s_load_b64 s[52:53], s[0:1], 0x0
	s_load_b256 s[20:27], s[0:1], 0x8
	s_wait_xcnt 0x0
	s_clause 0x1
	s_load_b64 s[4:5], s[0:1], 0x28
	s_load_b256 s[36:43], s[0:1], 0x90
	s_wait_kmcnt 0x0
	s_mul_u64 s[42:43], s[8:9], s[54:55]
	s_add_nc_u64 s[8:9], s[18:19], s[2:3]
	s_lshl_b64 s[18:19], s[42:43], 3
	s_lshl_b64 s[42:43], s[12:13], 2
	s_add_nc_u64 s[12:13], s[6:7], s[18:19]
	s_add_nc_u64 s[10:11], s[10:11], s[42:43]
	s_lshl_b64 s[6:7], s[56:57], 3
	v_cmp_eq_u32_e64 s0, 0, v0
	s_add_nc_u64 s[16:17], s[50:51], s[6:7]
	v_cmp_ne_u32_e64 s1, 0, v0
	v_cmp_lt_u32_e64 s2, 3, v0
	v_cmp_ne_u32_e64 s3, v0, v24
	v_frexp_mant_f64_e32 v[2:3], s[30:31]
	v_cmp_class_f64_e64 s29, s[30:31], 0x204
	s_ashr_i32 s19, s24, 31
	s_mov_b32 s18, s24
	s_ashr_i32 s43, s25, 31
	s_mov_b32 s42, s25
	s_ashr_i32 s25, s4, 31
	s_mov_b32 s24, s4
	v_cmp_lt_f64_e64 s4, s[20:21], 0
	s_ashr_i32 s57, s5, 31
	s_mov_b32 s56, s5
	s_mul_i32 s6, s53, s54
	s_add_co_i32 s5, s53, -1
	s_mul_u64 s[42:43], s[42:43], s[54:55]
	s_lshl_b64 s[50:51], s[18:19], 3
	s_mul_u64 s[18:19], s[56:57], s[54:55]
	s_ashr_i32 s7, s6, 31
	s_lshl_b64 s[56:57], s[24:25], 3
	s_mul_i32 s24, s5, s54
	s_lshl_b32 s54, s6, 2
	s_lshl_b64 s[42:43], s[42:43], 3
	s_lshl_b64 s[58:59], s[18:19], 3
	;; [unrolled: 1-line block ×3, first 2 shown]
	s_ashr_i32 s25, s24, 31
	s_ashr_i32 s55, s54, 31
	s_add_nc_u64 s[62:63], s[26:27], s[58:59]
	s_add_nc_u64 s[18:19], s[44:45], s[6:7]
	;; [unrolled: 1-line block ×4, first 2 shown]
	s_lshl_b64 s[64:65], s[24:25], 3
	s_lshl_b64 s[66:67], s[54:55], 3
	;; [unrolled: 1-line block ×3, first 2 shown]
	v_cmp_gt_f64_e32 vcc_lo, s[34:35], v[2:3]
	s_add_nc_u64 s[60:61], s[22:23], s[42:43]
	s_cmp_lg_u32 s52, 0xe7
	s_add_nc_u64 s[6:7], s[22:23], s[6:7]
	s_add_nc_u64 s[26:27], s[26:27], s[58:59]
	;; [unrolled: 1-line block ×7, first 2 shown]
	s_cselect_b32 s52, -1, 0
	s_add_nc_u64 s[22:23], s[6:7], 8
	s_add_nc_u64 s[26:27], s[26:27], 8
                                        ; implicit-def: $sgpr64
                                        ; implicit-def: $sgpr65
                                        ; implicit-def: $sgpr66
                                        ; implicit-def: $sgpr67
	v_cndmask_b32_e64 v1, 0, 1, vcc_lo
	s_delay_alu instid0(VALU_DEP_1) | instskip(SKIP_1) | instid1(VALU_DEP_2)
	v_ldexp_f64 v[2:3], v[2:3], v1
	v_frexp_exp_i32_f64_e32 v1, s[30:31]
	v_add_f64_e32 v[4:5], 1.0, v[2:3]
	v_add_f64_e32 v[10:11], -1.0, v[2:3]
	s_delay_alu instid0(VALU_DEP_3) | instskip(SKIP_1) | instid1(VALU_DEP_4)
	v_subrev_co_ci_u32_e64 v1, null, 0, v1, vcc_lo
	v_cmp_nlt_f64_e64 vcc_lo, s[30:31], 0
	v_rcp_f64_e32 v[6:7], v[4:5]
	v_add_f64_e32 v[12:13], -1.0, v[4:5]
	s_delay_alu instid0(VALU_DEP_1) | instskip(NEXT) | instid1(TRANS32_DEP_1)
	v_add_f64_e64 v[2:3], v[2:3], -v[12:13]
	v_fma_f64 v[8:9], -v[4:5], v[6:7], 1.0
	s_delay_alu instid0(VALU_DEP_1) | instskip(NEXT) | instid1(VALU_DEP_1)
	v_fmac_f64_e32 v[6:7], v[8:9], v[6:7]
	v_fma_f64 v[8:9], -v[4:5], v[6:7], 1.0
	s_delay_alu instid0(VALU_DEP_1) | instskip(NEXT) | instid1(VALU_DEP_1)
	v_fmac_f64_e32 v[6:7], v[8:9], v[6:7]
	v_mul_f64_e32 v[8:9], v[10:11], v[6:7]
	s_delay_alu instid0(VALU_DEP_1) | instskip(NEXT) | instid1(VALU_DEP_1)
	v_mul_f64_e32 v[14:15], v[4:5], v[8:9]
	v_fma_f64 v[4:5], v[8:9], v[4:5], -v[14:15]
	s_delay_alu instid0(VALU_DEP_1) | instskip(NEXT) | instid1(VALU_DEP_1)
	v_fmac_f64_e32 v[4:5], v[8:9], v[2:3]
	v_add_f64_e32 v[2:3], v[14:15], v[4:5]
	s_delay_alu instid0(VALU_DEP_1) | instskip(SKIP_1) | instid1(VALU_DEP_2)
	v_add_f64_e64 v[12:13], v[10:11], -v[2:3]
	v_add_f64_e64 v[14:15], v[2:3], -v[14:15]
	;; [unrolled: 1-line block ×3, first 2 shown]
	s_delay_alu instid0(VALU_DEP_2) | instskip(SKIP_1) | instid1(VALU_DEP_3)
	v_add_f64_e64 v[4:5], v[14:15], -v[4:5]
	v_mov_b64_e32 v[14:15], 0x3fc385386b47b09a
	v_add_f64_e64 v[2:3], v[10:11], -v[2:3]
	s_delay_alu instid0(VALU_DEP_1) | instskip(NEXT) | instid1(VALU_DEP_1)
	v_add_f64_e32 v[2:3], v[4:5], v[2:3]
	v_add_f64_e32 v[2:3], v[12:13], v[2:3]
	s_delay_alu instid0(VALU_DEP_1) | instskip(NEXT) | instid1(VALU_DEP_1)
	v_mul_f64_e32 v[2:3], v[6:7], v[2:3]
	v_add_f64_e32 v[4:5], v[8:9], v[2:3]
	s_delay_alu instid0(VALU_DEP_1) | instskip(NEXT) | instid1(VALU_DEP_1)
	v_mul_f64_e32 v[6:7], v[4:5], v[4:5]
	v_fmamk_f64 v[10:11], v[6:7], 0x3fc3ab76bf559e2b, v[14:15]
	v_mul_f64_e32 v[12:13], v[4:5], v[6:7]
	s_delay_alu instid0(VALU_DEP_2) | instskip(NEXT) | instid1(VALU_DEP_1)
	v_fmaak_f64 v[10:11], v[6:7], v[10:11], 0x3fc7474dd7f4df2e
	v_fmaak_f64 v[10:11], v[6:7], v[10:11], 0x3fcc71c016291751
	s_delay_alu instid0(VALU_DEP_1) | instskip(NEXT) | instid1(VALU_DEP_1)
	v_fmaak_f64 v[10:11], v[6:7], v[10:11], 0x3fd249249b27acf1
	v_fmaak_f64 v[10:11], v[6:7], v[10:11], 0x3fd99999998ef7b6
	s_delay_alu instid0(VALU_DEP_1) | instskip(SKIP_2) | instid1(VALU_DEP_3)
	v_fmaak_f64 v[6:7], v[6:7], v[10:11], 0x3fe5555555555780
	v_ldexp_f64 v[10:11], v[4:5], 1
	v_add_f64_e64 v[4:5], v[4:5], -v[8:9]
	v_mul_f64_e32 v[6:7], v[12:13], v[6:7]
	v_cvt_f64_i32_e32 v[12:13], v1
	v_lshl_or_b32 v1, v0, 2, 0x1800
	s_delay_alu instid0(VALU_DEP_4) | instskip(NEXT) | instid1(VALU_DEP_4)
	v_add_f64_e64 v[2:3], v[2:3], -v[4:5]
	v_add_f64_e32 v[8:9], v[10:11], v[6:7]
	s_delay_alu instid0(VALU_DEP_4) | instskip(NEXT) | instid1(VALU_DEP_3)
	v_mul_f64_e32 v[16:17], 0x3fe62e42fefa39ef, v[12:13]
	v_ldexp_f64 v[2:3], v[2:3], 1
	s_delay_alu instid0(VALU_DEP_3) | instskip(NEXT) | instid1(VALU_DEP_3)
	v_add_f64_e64 v[4:5], v[8:9], -v[10:11]
	v_fma_f64 v[10:11], v[12:13], s[46:47], -v[16:17]
	s_delay_alu instid0(VALU_DEP_2) | instskip(NEXT) | instid1(VALU_DEP_2)
	v_add_f64_e64 v[4:5], v[6:7], -v[4:5]
	v_fmac_f64_e32 v[10:11], 0x3c7abc9e3b39803f, v[12:13]
	s_delay_alu instid0(VALU_DEP_2) | instskip(NEXT) | instid1(VALU_DEP_2)
	v_add_f64_e32 v[2:3], v[2:3], v[4:5]
	v_add_f64_e32 v[4:5], v[16:17], v[10:11]
	s_delay_alu instid0(VALU_DEP_2) | instskip(NEXT) | instid1(VALU_DEP_2)
	v_add_f64_e32 v[6:7], v[8:9], v[2:3]
	v_add_f64_e64 v[16:17], v[4:5], -v[16:17]
	s_delay_alu instid0(VALU_DEP_2) | instskip(SKIP_1) | instid1(VALU_DEP_3)
	v_add_f64_e32 v[12:13], v[4:5], v[6:7]
	v_add_f64_e64 v[8:9], v[6:7], -v[8:9]
	v_add_f64_e64 v[10:11], v[10:11], -v[16:17]
	s_delay_alu instid0(VALU_DEP_3) | instskip(NEXT) | instid1(VALU_DEP_3)
	v_add_f64_e64 v[18:19], v[12:13], -v[4:5]
	v_add_f64_e64 v[2:3], v[2:3], -v[8:9]
	s_delay_alu instid0(VALU_DEP_2) | instskip(SKIP_1) | instid1(VALU_DEP_3)
	v_add_f64_e64 v[20:21], v[12:13], -v[18:19]
	v_add_f64_e64 v[6:7], v[6:7], -v[18:19]
	v_add_f64_e32 v[8:9], v[10:11], v[2:3]
	s_delay_alu instid0(VALU_DEP_3) | instskip(NEXT) | instid1(VALU_DEP_1)
	v_add_f64_e64 v[4:5], v[4:5], -v[20:21]
	v_add_f64_e32 v[4:5], v[6:7], v[4:5]
	s_delay_alu instid0(VALU_DEP_3) | instskip(NEXT) | instid1(VALU_DEP_2)
	v_add_f64_e64 v[6:7], v[8:9], -v[10:11]
	v_add_f64_e32 v[4:5], v[8:9], v[4:5]
	s_delay_alu instid0(VALU_DEP_2) | instskip(SKIP_1) | instid1(VALU_DEP_3)
	v_add_f64_e64 v[8:9], v[8:9], -v[6:7]
	v_add_f64_e64 v[2:3], v[2:3], -v[6:7]
	v_add_f64_e32 v[16:17], v[12:13], v[4:5]
	s_delay_alu instid0(VALU_DEP_3) | instskip(NEXT) | instid1(VALU_DEP_2)
	v_add_f64_e64 v[6:7], v[10:11], -v[8:9]
	v_add_f64_e64 v[8:9], v[16:17], -v[12:13]
	s_delay_alu instid0(VALU_DEP_2) | instskip(NEXT) | instid1(VALU_DEP_2)
	v_add_f64_e32 v[2:3], v[2:3], v[6:7]
	v_add_f64_e64 v[4:5], v[4:5], -v[8:9]
	s_delay_alu instid0(VALU_DEP_1) | instskip(NEXT) | instid1(VALU_DEP_1)
	v_add_f64_e32 v[2:3], v[2:3], v[4:5]
	v_add_f64_e32 v[2:3], v[16:17], v[2:3]
	v_add_f64_e64 v[16:17], s[40:41], s[40:41]
	s_delay_alu instid0(VALU_DEP_2) | instskip(NEXT) | instid1(VALU_DEP_3)
	v_cndmask_b32_e64 v3, v3, s31, s29
	v_cndmask_b32_e64 v2, v2, s30, s29
	s_delay_alu instid0(VALU_DEP_2) | instskip(SKIP_1) | instid1(VALU_DEP_3)
	v_cndmask_b32_e32 v3, 0x7ff80000, v3, vcc_lo
	v_cmp_nle_f64_e64 vcc_lo, s[30:31], 0
	v_cndmask_b32_e32 v18, 0, v2, vcc_lo
	v_cmp_neq_f64_e64 vcc_lo, s[30:31], 0
	s_delay_alu instid0(VALU_DEP_4)
	v_cndmask_b32_e32 v19, 0xfff00000, v3, vcc_lo
                                        ; implicit-def: $vgpr2_vgpr3
                                        ; implicit-def: $vgpr2_vgpr3
	;; [unrolled: 1-line block ×5, first 2 shown]
	s_branch .LBB7_4
.LBB7_2:                                ;   in Loop: Header=BB7_4 Depth=1
	s_wait_xcnt 0x0
	s_or_b32 exec_lo, exec_lo, s5
	v_mov_b32_e32 v5, v27
	s_mov_b32 s62, s67
	s_mov_b32 s29, s66
	;; [unrolled: 1-line block ×4, first 2 shown]
.LBB7_3:                                ;   in Loop: Header=BB7_4 Depth=1
	v_mov_b32_e32 v27, v5
	s_add_co_i32 s28, s28, 64
	s_mov_b32 s64, s49
	s_cmp_lt_i32 s28, s33
	s_mov_b32 s65, s63
	s_mov_b32 s66, s29
	;; [unrolled: 1-line block ×3, first 2 shown]
	s_wait_loadcnt 0x0
	s_wait_storecnt 0x0
	s_barrier_signal -1
	s_barrier_wait -1
	s_cbranch_scc0 .LBB7_91
.LBB7_4:                                ; =>This Loop Header: Depth=1
                                        ;     Child Loop BB7_9 Depth 2
                                        ;     Child Loop BB7_20 Depth 2
	;; [unrolled: 1-line block ×4, first 2 shown]
                                        ;       Child Loop BB7_37 Depth 3
                                        ;         Child Loop BB7_40 Depth 4
                                        ;         Child Loop BB7_54 Depth 4
                                        ;         Child Loop BB7_58 Depth 4
                                        ;     Child Loop BB7_75 Depth 2
                                        ;       Child Loop BB7_77 Depth 3
	s_ashr_i32 s29, s28, 31
	s_cmp_eq_u32 s28, 0
	s_mov_b32 s48, 0
	s_cbranch_scc1 .LBB7_6
; %bb.5:                                ;   in Loop: Header=BB7_4 Depth=1
	s_lshl_b64 s[6:7], s[28:29], 2
	s_delay_alu instid0(SALU_CYCLE_1)
	s_add_nc_u64 s[6:7], s[14:15], s[6:7]
	global_load_b32 v2, v25, s[6:7] offset:-4
	s_wait_loadcnt 0x0
	v_readfirstlane_b32 s48, v2
.LBB7_6:                                ;   in Loop: Header=BB7_4 Depth=1
	s_lshl_b64 s[50:51], s[28:29], 2
	s_delay_alu instid0(SALU_CYCLE_1) | instskip(SKIP_4) | instid1(SALU_CYCLE_1)
	s_add_nc_u64 s[6:7], s[14:15], s[50:51]
	global_load_b32 v2, v25, s[6:7]
	s_wait_loadcnt 0x0
	v_readfirstlane_b32 s68, v2
	s_sub_co_i32 s69, s68, s48
	s_cmp_lg_u32 s69, 1
	s_cbranch_scc0 .LBB7_69
; %bb.7:                                ;   in Loop: Header=BB7_4 Depth=1
	v_mov_b32_e32 v2, s48
	s_ashr_i32 s49, s48, 31
	s_clause 0x1
	global_load_b64 v[10:11], v2, s[24:25] scale_offset
	global_load_b64 v[6:7], v2, s[42:43] scale_offset
	s_lshl_b64 s[6:7], s[48:49], 3
	s_cmp_lt_i32 s69, 3
	s_add_nc_u64 s[54:55], s[22:23], s[6:7]
	s_wait_loadcnt 0x0
	v_add_f64_e64 v[2:3], v[10:11], -|v[6:7]|
	v_add_f64_e64 v[4:5], v[10:11], |v[6:7]|
	v_and_b32_e32 v7, 0x7fffffff, v7
	s_cbranch_scc1 .LBB7_10
; %bb.8:                                ;   in Loop: Header=BB7_4 Depth=1
	s_add_co_i32 s29, s69, -2
	s_add_nc_u64 s[56:57], s[22:23], s[6:7]
	s_add_nc_u64 s[58:59], s[26:27], s[6:7]
.LBB7_9:                                ;   Parent Loop BB7_4 Depth=1
                                        ; =>  This Inner Loop Header: Depth=2
	s_clause 0x1
	global_load_b64 v[8:9], v25, s[56:57]
	global_load_b64 v[12:13], v25, s[58:59]
	s_add_co_i32 s29, s29, -1
	s_wait_xcnt 0x1
	s_add_nc_u64 s[56:57], s[56:57], 8
	s_cmp_lg_u32 s29, 0
	s_wait_xcnt 0x0
	s_add_nc_u64 s[58:59], s[58:59], 8
	s_wait_loadcnt 0x1
	v_add_f64_e64 v[20:21], v[8:9], -v[6:7]
	v_add_f64_e32 v[6:7], v[6:7], v[8:9]
	s_wait_loadcnt 0x0
	s_delay_alu instid0(VALU_DEP_2) | instskip(NEXT) | instid1(VALU_DEP_2)
	v_add_f64_e64 v[8:9], v[20:21], -|v[12:13]|
	v_add_f64_e64 v[20:21], v[6:7], |v[12:13]|
	v_and_b32_e32 v7, 0x7fffffff, v13
	s_delay_alu instid0(VALU_DEP_3) | instskip(NEXT) | instid1(VALU_DEP_3)
	v_cmp_lt_f64_e32 vcc_lo, v[8:9], v[2:3]
	v_cmp_lt_f64_e64 s5, v[4:5], v[20:21]
	v_dual_mov_b32 v6, v12 :: v_dual_cndmask_b32 v3, v3, v9
	s_delay_alu instid0(VALU_DEP_2)
	v_dual_cndmask_b32 v5, v5, v21, s5 :: v_dual_cndmask_b32 v2, v2, v8, vcc_lo
	v_cndmask_b32_e64 v4, v4, v20, s5
	s_cbranch_scc1 .LBB7_9
.LBB7_10:                               ;   in Loop: Header=BB7_4 Depth=1
	v_mov_b32_e32 v8, s69
	s_add_nc_u64 s[56:57], s[24:25], s[6:7]
	global_load_b64 v[8:9], v8, s[56:57] offset:-8 scale_offset
	s_wait_loadcnt 0x0
	v_add_f64_e64 v[12:13], v[8:9], -v[6:7]
	v_add_f64_e32 v[6:7], v[6:7], v[8:9]
	s_delay_alu instid0(VALU_DEP_2) | instskip(NEXT) | instid1(VALU_DEP_2)
	v_cmp_lt_f64_e32 vcc_lo, v[12:13], v[2:3]
	v_cmp_lt_f64_e64 s5, v[4:5], v[6:7]
	s_delay_alu instid0(VALU_DEP_1) | instskip(SKIP_2) | instid1(VALU_DEP_2)
	v_dual_cndmask_b32 v9, v3, v13, vcc_lo :: v_dual_cndmask_b32 v5, v5, v7, s5
	v_dual_cndmask_b32 v8, v2, v12, vcc_lo :: v_dual_cndmask_b32 v4, v4, v6, s5
	v_cvt_f64_i32_e32 v[6:7], s69
	v_cmp_lt_f64_e64 vcc_lo, |v[8:9]|, |v[4:5]|
	v_dual_cndmask_b32 v3, v9, v5 :: v_dual_cndmask_b32 v2, v8, v4
	s_and_not1_b32 vcc_lo, exec_lo, s52
	s_delay_alu instid0(VALU_DEP_1) | instskip(NEXT) | instid1(VALU_DEP_1)
	v_mul_f64_e64 v[2:3], s[40:41], |v[2:3]|
	v_fma_f64 v[8:9], -v[2:3], v[6:7], v[8:9]
	v_fmac_f64_e32 v[4:5], v[2:3], v[6:7]
	s_delay_alu instid0(VALU_DEP_2) | instskip(NEXT) | instid1(VALU_DEP_2)
	v_add_f64_e64 v[6:7], v[8:9], -s[30:31]
	v_add_f64_e32 v[8:9], s[30:31], v[4:5]
	s_cbranch_vccnz .LBB7_12
; %bb.11:                               ;   in Loop: Header=BB7_4 Depth=1
	global_load_b128 v[28:31], v25, s[16:17]
	s_wait_loadcnt 0x0
	v_cmp_lt_f64_e32 vcc_lo, v[6:7], v[28:29]
	v_cmp_lt_f64_e64 s5, v[30:31], v[8:9]
	s_delay_alu instid0(VALU_DEP_1)
	v_dual_cndmask_b32 v7, v7, v29, vcc_lo :: v_dual_cndmask_b32 v9, v9, v31, s5
	v_dual_cndmask_b32 v6, v6, v28, vcc_lo :: v_dual_cndmask_b32 v8, v8, v30, s5
.LBB7_12:                               ;   in Loop: Header=BB7_4 Depth=1
	s_delay_alu instid0(VALU_DEP_1)
	v_cmp_nlt_f64_e32 vcc_lo, v[6:7], v[8:9]
	s_mov_b32 s5, -1
	s_cbranch_vccz .LBB7_16
; %bb.13:                               ;   in Loop: Header=BB7_4 Depth=1
	s_and_saveexec_b32 s5, s0
	s_cbranch_execz .LBB7_15
; %bb.14:                               ;   in Loop: Header=BB7_4 Depth=1
	s_add_nc_u64 s[58:59], s[18:19], s[50:51]
	ds_store_b16 v25, v25 offset:6660
	global_store_b32 v25, v25, s[58:59]
.LBB7_15:                               ;   in Loop: Header=BB7_4 Depth=1
	s_wait_xcnt 0x0
	s_or_b32 exec_lo, exec_lo, s5
	s_mov_b32 s5, 0
.LBB7_16:                               ;   in Loop: Header=BB7_4 Depth=1
	v_mov_b32_e32 v5, v27
	s_mov_b32 s62, s67
	s_and_not1_b32 vcc_lo, exec_lo, s5
	s_mov_b32 s29, s66
	s_mov_b32 s49, s64
	s_cbranch_vccnz .LBB7_29
; %bb.17:                               ;   in Loop: Header=BB7_4 Depth=1
	v_add_f64_e64 v[4:5], v[8:9], -v[6:7]
	s_delay_alu instid0(VALU_DEP_1) | instskip(NEXT) | instid1(VALU_DEP_1)
	v_add_f64_e32 v[4:5], s[30:31], v[4:5]
	v_frexp_mant_f64_e32 v[12:13], v[4:5]
	s_delay_alu instid0(VALU_DEP_1) | instskip(SKIP_1) | instid1(VALU_DEP_1)
	v_cmp_gt_f64_e32 vcc_lo, s[34:35], v[12:13]
	v_cndmask_b32_e64 v20, 0, 1, vcc_lo
	v_ldexp_f64 v[12:13], v[12:13], v20
	s_delay_alu instid0(VALU_DEP_1) | instskip(SKIP_1) | instid1(VALU_DEP_2)
	v_add_f64_e32 v[20:21], 1.0, v[12:13]
	v_add_f64_e32 v[32:33], -1.0, v[12:13]
	v_rcp_f64_e32 v[28:29], v[20:21]
	v_add_f64_e32 v[34:35], -1.0, v[20:21]
	s_delay_alu instid0(VALU_DEP_1) | instskip(NEXT) | instid1(TRANS32_DEP_1)
	v_add_f64_e64 v[12:13], v[12:13], -v[34:35]
	v_fma_f64 v[30:31], -v[20:21], v[28:29], 1.0
	s_delay_alu instid0(VALU_DEP_1) | instskip(NEXT) | instid1(VALU_DEP_1)
	v_fmac_f64_e32 v[28:29], v[30:31], v[28:29]
	v_fma_f64 v[30:31], -v[20:21], v[28:29], 1.0
	s_delay_alu instid0(VALU_DEP_1) | instskip(NEXT) | instid1(VALU_DEP_1)
	v_fmac_f64_e32 v[28:29], v[30:31], v[28:29]
	v_mul_f64_e32 v[30:31], v[32:33], v[28:29]
	s_delay_alu instid0(VALU_DEP_1) | instskip(NEXT) | instid1(VALU_DEP_1)
	v_mul_f64_e32 v[36:37], v[20:21], v[30:31]
	v_fma_f64 v[20:21], v[30:31], v[20:21], -v[36:37]
	s_delay_alu instid0(VALU_DEP_1) | instskip(NEXT) | instid1(VALU_DEP_1)
	v_fmac_f64_e32 v[20:21], v[30:31], v[12:13]
	v_add_f64_e32 v[12:13], v[36:37], v[20:21]
	s_delay_alu instid0(VALU_DEP_1) | instskip(SKIP_1) | instid1(VALU_DEP_2)
	v_add_f64_e64 v[34:35], v[32:33], -v[12:13]
	v_add_f64_e64 v[36:37], v[12:13], -v[36:37]
	;; [unrolled: 1-line block ×3, first 2 shown]
	s_delay_alu instid0(VALU_DEP_2) | instskip(SKIP_1) | instid1(VALU_DEP_3)
	v_add_f64_e64 v[20:21], v[36:37], -v[20:21]
	v_frexp_exp_i32_f64_e32 v36, v[4:5]
	v_add_f64_e64 v[12:13], v[32:33], -v[12:13]
	s_delay_alu instid0(VALU_DEP_1) | instskip(NEXT) | instid1(VALU_DEP_1)
	v_add_f64_e32 v[12:13], v[20:21], v[12:13]
	v_add_f64_e32 v[12:13], v[34:35], v[12:13]
	s_delay_alu instid0(VALU_DEP_1) | instskip(NEXT) | instid1(VALU_DEP_1)
	v_mul_f64_e32 v[12:13], v[28:29], v[12:13]
	v_add_f64_e32 v[20:21], v[30:31], v[12:13]
	s_delay_alu instid0(VALU_DEP_1) | instskip(NEXT) | instid1(VALU_DEP_1)
	v_mul_f64_e32 v[28:29], v[20:21], v[20:21]
	v_fmamk_f64 v[32:33], v[28:29], 0x3fc3ab76bf559e2b, v[14:15]
	v_mul_f64_e32 v[34:35], v[20:21], v[28:29]
	s_delay_alu instid0(VALU_DEP_2) | instskip(NEXT) | instid1(VALU_DEP_1)
	v_fmaak_f64 v[32:33], v[28:29], v[32:33], 0x3fc7474dd7f4df2e
	v_fmaak_f64 v[32:33], v[28:29], v[32:33], 0x3fcc71c016291751
	s_delay_alu instid0(VALU_DEP_1) | instskip(NEXT) | instid1(VALU_DEP_1)
	v_fmaak_f64 v[32:33], v[28:29], v[32:33], 0x3fd249249b27acf1
	v_fmaak_f64 v[32:33], v[28:29], v[32:33], 0x3fd99999998ef7b6
	s_delay_alu instid0(VALU_DEP_1) | instskip(SKIP_2) | instid1(VALU_DEP_3)
	v_fmaak_f64 v[28:29], v[28:29], v[32:33], 0x3fe5555555555780
	v_ldexp_f64 v[32:33], v[20:21], 1
	v_add_f64_e64 v[20:21], v[20:21], -v[30:31]
	v_mul_f64_e32 v[28:29], v[34:35], v[28:29]
	v_subrev_co_ci_u32_e64 v34, null, 0, v36, vcc_lo
	v_cmp_class_f64_e64 vcc_lo, v[4:5], 0x204
	s_delay_alu instid0(VALU_DEP_2) | instskip(SKIP_2) | instid1(VALU_DEP_3)
	v_cvt_f64_i32_e32 v[34:35], v34
	v_add_f64_e64 v[12:13], v[12:13], -v[20:21]
	v_add_f64_e32 v[30:31], v[32:33], v[28:29]
	v_mul_f64_e32 v[36:37], 0x3fe62e42fefa39ef, v[34:35]
	s_delay_alu instid0(VALU_DEP_3) | instskip(NEXT) | instid1(VALU_DEP_3)
	v_ldexp_f64 v[12:13], v[12:13], 1
	v_add_f64_e64 v[20:21], v[30:31], -v[32:33]
	s_delay_alu instid0(VALU_DEP_3) | instskip(NEXT) | instid1(VALU_DEP_2)
	v_fma_f64 v[32:33], v[34:35], s[46:47], -v[36:37]
	v_add_f64_e64 v[20:21], v[28:29], -v[20:21]
	s_delay_alu instid0(VALU_DEP_2) | instskip(NEXT) | instid1(VALU_DEP_2)
	v_fmac_f64_e32 v[32:33], 0x3c7abc9e3b39803f, v[34:35]
	v_add_f64_e32 v[12:13], v[12:13], v[20:21]
	s_delay_alu instid0(VALU_DEP_2) | instskip(NEXT) | instid1(VALU_DEP_2)
	v_add_f64_e32 v[20:21], v[36:37], v[32:33]
	v_add_f64_e32 v[28:29], v[30:31], v[12:13]
	s_delay_alu instid0(VALU_DEP_2) | instskip(NEXT) | instid1(VALU_DEP_2)
	v_add_f64_e64 v[36:37], v[20:21], -v[36:37]
	v_add_f64_e32 v[34:35], v[20:21], v[28:29]
	v_add_f64_e64 v[30:31], v[28:29], -v[30:31]
	s_delay_alu instid0(VALU_DEP_3) | instskip(NEXT) | instid1(VALU_DEP_3)
	v_add_f64_e64 v[32:33], v[32:33], -v[36:37]
	v_add_f64_e64 v[38:39], v[34:35], -v[20:21]
	s_delay_alu instid0(VALU_DEP_3) | instskip(NEXT) | instid1(VALU_DEP_2)
	v_add_f64_e64 v[12:13], v[12:13], -v[30:31]
	v_add_f64_e64 v[40:41], v[34:35], -v[38:39]
	;; [unrolled: 1-line block ×3, first 2 shown]
	s_delay_alu instid0(VALU_DEP_3) | instskip(NEXT) | instid1(VALU_DEP_3)
	v_add_f64_e32 v[30:31], v[32:33], v[12:13]
	v_add_f64_e64 v[20:21], v[20:21], -v[40:41]
	s_delay_alu instid0(VALU_DEP_1) | instskip(NEXT) | instid1(VALU_DEP_3)
	v_add_f64_e32 v[20:21], v[28:29], v[20:21]
	v_add_f64_e64 v[28:29], v[30:31], -v[32:33]
	s_delay_alu instid0(VALU_DEP_2) | instskip(NEXT) | instid1(VALU_DEP_2)
	v_add_f64_e32 v[20:21], v[30:31], v[20:21]
	v_add_f64_e64 v[30:31], v[30:31], -v[28:29]
	v_add_f64_e64 v[12:13], v[12:13], -v[28:29]
	s_delay_alu instid0(VALU_DEP_3) | instskip(NEXT) | instid1(VALU_DEP_3)
	v_add_f64_e32 v[36:37], v[34:35], v[20:21]
	v_add_f64_e64 v[28:29], v[32:33], -v[30:31]
	s_delay_alu instid0(VALU_DEP_2) | instskip(NEXT) | instid1(VALU_DEP_2)
	v_add_f64_e64 v[30:31], v[36:37], -v[34:35]
	v_add_f64_e32 v[12:13], v[12:13], v[28:29]
	s_delay_alu instid0(VALU_DEP_2) | instskip(NEXT) | instid1(VALU_DEP_1)
	v_add_f64_e64 v[20:21], v[20:21], -v[30:31]
	v_add_f64_e32 v[12:13], v[12:13], v[20:21]
	s_delay_alu instid0(VALU_DEP_1) | instskip(NEXT) | instid1(VALU_DEP_1)
	v_add_f64_e32 v[12:13], v[36:37], v[12:13]
	v_dual_cndmask_b32 v12, v12, v4 :: v_dual_cndmask_b32 v13, v13, v5
	v_cmp_ngt_f64_e32 vcc_lo, 0, v[4:5]
	s_delay_alu instid0(VALU_DEP_2) | instskip(SKIP_1) | instid1(VALU_DEP_4)
	v_cndmask_b32_e32 v13, 0x7ff80000, v13, vcc_lo
	v_cmp_nge_f64_e32 vcc_lo, 0, v[4:5]
	v_cndmask_b32_e32 v12, 0, v12, vcc_lo
	v_cmp_neq_f64_e32 vcc_lo, 0, v[4:5]
	s_delay_alu instid0(VALU_DEP_4) | instskip(NEXT) | instid1(VALU_DEP_1)
	v_cndmask_b32_e32 v13, 0xfff00000, v13, vcc_lo
	v_add_f64_e64 v[4:5], v[12:13], -v[18:19]
	s_delay_alu instid0(VALU_DEP_1) | instskip(SKIP_1) | instid1(VALU_DEP_2)
	v_div_scale_f64 v[12:13], null, s[46:47], s[46:47], v[4:5]
	v_div_scale_f64 v[30:31], vcc_lo, v[4:5], s[46:47], v[4:5]
	v_rcp_f64_e32 v[20:21], v[12:13]
	v_nop
	s_delay_alu instid0(TRANS32_DEP_1) | instskip(NEXT) | instid1(VALU_DEP_1)
	v_fma_f64 v[28:29], -v[12:13], v[20:21], 1.0
	v_fmac_f64_e32 v[20:21], v[20:21], v[28:29]
	s_delay_alu instid0(VALU_DEP_1) | instskip(NEXT) | instid1(VALU_DEP_1)
	v_fma_f64 v[28:29], -v[12:13], v[20:21], 1.0
	v_fmac_f64_e32 v[20:21], v[20:21], v[28:29]
	s_delay_alu instid0(VALU_DEP_1) | instskip(NEXT) | instid1(VALU_DEP_1)
	v_mul_f64_e32 v[28:29], v[30:31], v[20:21]
	v_fma_f64 v[12:13], -v[12:13], v[28:29], v[30:31]
	s_delay_alu instid0(VALU_DEP_1) | instskip(NEXT) | instid1(VALU_DEP_1)
	v_div_fmas_f64 v[12:13], v[12:13], v[20:21], v[28:29]
	v_div_fixup_f64 v[4:5], v[12:13], s[46:47], v[4:5]
	s_delay_alu instid0(VALU_DEP_1) | instskip(SKIP_1) | instid1(VALU_DEP_2)
	v_cvt_i32_f64_e32 v4, v[4:5]
	v_mov_b32_e32 v5, v27
	v_readfirstlane_b32 s29, v4
	s_and_saveexec_b32 s49, s0
	s_cbranch_execz .LBB7_28
; %bb.18:                               ;   in Loop: Header=BB7_4 Depth=1
	v_add_f64_e64 v[12:13], v[10:11], -v[6:7]
	s_cmp_gt_i32 s69, 1
	s_add_nc_u64 s[58:59], s[44:45], s[6:7]
	s_cselect_b32 s70, -1, 0
	s_cmp_lt_i32 s69, 2
	ds_store_b8 v25, v25 offset:6661
	v_cmp_ge_f64_e32 vcc_lo, s[30:31], v[12:13]
	v_cndmask_b32_e64 v4, 0, 1, vcc_lo
	s_cbranch_scc1 .LBB7_21
; %bb.19:                               ;   in Loop: Header=BB7_4 Depth=1
	v_cmp_gt_f64_e64 s60, v[12:13], -s[30:31]
	s_xor_b32 s5, s31, 0x80000000
	s_not_b32 s61, s48
	s_mov_b64 s[62:63], s[58:59]
	s_add_co_i32 s71, s61, s68
	s_and_b32 s60, vcc_lo, s60
	s_delay_alu instid0(SALU_CYCLE_1)
	v_cndmask_b32_e64 v13, v13, s5, s60
	v_cndmask_b32_e64 v12, v12, s30, s60
	s_add_nc_u64 s[60:61], s[22:23], s[6:7]
.LBB7_20:                               ;   Parent Loop BB7_4 Depth=1
                                        ; =>  This Inner Loop Header: Depth=2
	s_clause 0x1
	global_load_b64 v[20:21], v25, s[62:63]
	global_load_b64 v[28:29], v25, s[60:61]
	s_add_co_i32 s71, s71, -1
	s_wait_xcnt 0x0
	s_add_nc_u64 s[60:61], s[60:61], 8
	s_add_nc_u64 s[62:63], s[62:63], 8
	s_wait_loadcnt 0x1
	v_div_scale_f64 v[30:31], null, v[12:13], v[12:13], v[20:21]
	v_div_scale_f64 v[36:37], vcc_lo, v[20:21], v[12:13], v[20:21]
	s_wait_loadcnt 0x0
	v_add_f64_e64 v[28:29], v[28:29], -v[6:7]
	s_delay_alu instid0(VALU_DEP_3) | instskip(SKIP_1) | instid1(TRANS32_DEP_1)
	v_rcp_f64_e32 v[32:33], v[30:31]
	v_nop
	v_fma_f64 v[34:35], -v[30:31], v[32:33], 1.0
	s_delay_alu instid0(VALU_DEP_1) | instskip(NEXT) | instid1(VALU_DEP_1)
	v_fmac_f64_e32 v[32:33], v[32:33], v[34:35]
	v_fma_f64 v[34:35], -v[30:31], v[32:33], 1.0
	s_delay_alu instid0(VALU_DEP_1) | instskip(NEXT) | instid1(VALU_DEP_1)
	v_fmac_f64_e32 v[32:33], v[32:33], v[34:35]
	v_mul_f64_e32 v[34:35], v[36:37], v[32:33]
	s_delay_alu instid0(VALU_DEP_1) | instskip(NEXT) | instid1(VALU_DEP_1)
	v_fma_f64 v[30:31], -v[30:31], v[34:35], v[36:37]
	v_div_fmas_f64 v[30:31], v[30:31], v[32:33], v[34:35]
	s_delay_alu instid0(VALU_DEP_1) | instskip(NEXT) | instid1(VALU_DEP_1)
	v_div_fixup_f64 v[12:13], v[30:31], v[12:13], v[20:21]
	v_add_f64_e64 v[12:13], v[28:29], -v[12:13]
	s_delay_alu instid0(VALU_DEP_1)
	v_cmp_ge_f64_e32 vcc_lo, s[30:31], v[12:13]
	v_cmp_gt_f64_e64 s72, v[12:13], -s[30:31]
	v_add_co_ci_u32_e64 v4, null, 0, v4, vcc_lo
	s_and_b32 s72, vcc_lo, s72
	s_cmp_lg_u32 s71, 0
	v_cndmask_b32_e64 v13, v13, s5, s72
	v_cndmask_b32_e64 v12, v12, s30, s72
	s_cbranch_scc1 .LBB7_20
.LBB7_21:                               ;   in Loop: Header=BB7_4 Depth=1
	v_add_f64_e64 v[10:11], v[10:11], -v[8:9]
	s_and_not1_b32 vcc_lo, exec_lo, s70
	s_delay_alu instid0(VALU_DEP_1) | instskip(NEXT) | instid1(VALU_DEP_1)
	v_cmp_ge_f64_e64 s5, s[30:31], v[10:11]
	v_cndmask_b32_e64 v5, 0, 1, s5
	s_cbranch_vccnz .LBB7_24
; %bb.22:                               ;   in Loop: Header=BB7_4 Depth=1
	v_cmp_gt_f64_e64 s60, v[10:11], -s[30:31]
	s_xor_b32 s62, s31, 0x80000000
	s_and_b32 s5, s5, s60
	s_add_nc_u64 s[60:61], s[22:23], s[6:7]
	v_cndmask_b32_e64 v11, v11, s62, s5
	v_cndmask_b32_e64 v10, v10, s30, s5
	s_not_b32 s5, s48
	s_delay_alu instid0(SALU_CYCLE_1)
	s_add_co_i32 s5, s5, s68
.LBB7_23:                               ;   Parent Loop BB7_4 Depth=1
                                        ; =>  This Inner Loop Header: Depth=2
	s_clause 0x1
	global_load_b64 v[12:13], v25, s[58:59]
	global_load_b64 v[20:21], v25, s[60:61]
	s_add_co_i32 s5, s5, -1
	s_wait_xcnt 0x0
	s_add_nc_u64 s[60:61], s[60:61], 8
	s_add_nc_u64 s[58:59], s[58:59], 8
	s_wait_loadcnt 0x1
	v_div_scale_f64 v[28:29], null, v[10:11], v[10:11], v[12:13]
	v_div_scale_f64 v[34:35], vcc_lo, v[12:13], v[10:11], v[12:13]
	s_wait_loadcnt 0x0
	v_add_f64_e64 v[20:21], v[20:21], -v[8:9]
	s_delay_alu instid0(VALU_DEP_3) | instskip(SKIP_1) | instid1(TRANS32_DEP_1)
	v_rcp_f64_e32 v[30:31], v[28:29]
	v_nop
	v_fma_f64 v[32:33], -v[28:29], v[30:31], 1.0
	s_delay_alu instid0(VALU_DEP_1) | instskip(NEXT) | instid1(VALU_DEP_1)
	v_fmac_f64_e32 v[30:31], v[30:31], v[32:33]
	v_fma_f64 v[32:33], -v[28:29], v[30:31], 1.0
	s_delay_alu instid0(VALU_DEP_1) | instskip(NEXT) | instid1(VALU_DEP_1)
	v_fmac_f64_e32 v[30:31], v[30:31], v[32:33]
	v_mul_f64_e32 v[32:33], v[34:35], v[30:31]
	s_delay_alu instid0(VALU_DEP_1) | instskip(NEXT) | instid1(VALU_DEP_1)
	v_fma_f64 v[28:29], -v[28:29], v[32:33], v[34:35]
	v_div_fmas_f64 v[28:29], v[28:29], v[30:31], v[32:33]
	s_delay_alu instid0(VALU_DEP_1) | instskip(NEXT) | instid1(VALU_DEP_1)
	v_div_fixup_f64 v[10:11], v[28:29], v[10:11], v[12:13]
	v_add_f64_e64 v[10:11], v[20:21], -v[10:11]
	s_delay_alu instid0(VALU_DEP_1)
	v_cmp_ge_f64_e32 vcc_lo, s[30:31], v[10:11]
	v_cmp_gt_f64_e64 s63, v[10:11], -s[30:31]
	v_add_co_ci_u32_e64 v5, null, 0, v5, vcc_lo
	s_and_b32 s63, vcc_lo, s63
	s_cmp_lg_u32 s5, 0
	v_cndmask_b32_e64 v11, v11, s62, s63
	v_cndmask_b32_e64 v10, v10, s30, s63
	s_cbranch_scc1 .LBB7_23
.LBB7_24:                               ;   in Loop: Header=BB7_4 Depth=1
	s_delay_alu instid0(VALU_DEP_1) | instskip(SKIP_1) | instid1(VALU_DEP_1)
	v_sub_nc_u32_e32 v10, v5, v4
	s_mov_b32 s5, -1
	v_cmp_gt_i32_e32 vcc_lo, 1, v10
	s_cbranch_vccz .LBB7_26
; %bb.25:                               ;   in Loop: Header=BB7_4 Depth=1
	s_add_nc_u64 s[58:59], s[18:19], s[50:51]
	s_mov_b32 s5, 0
	ds_store_b8 v25, v25 offset:6660
	global_store_b32 v25, v25, s[58:59]
.LBB7_26:                               ;   in Loop: Header=BB7_4 Depth=1
	s_and_not1_b32 vcc_lo, exec_lo, s5
	s_cbranch_vccnz .LBB7_28
; %bb.27:                               ;   in Loop: Header=BB7_4 Depth=1
	s_add_co_i32 s5, s48, s53
	s_add_nc_u64 s[60:61], s[18:19], s[50:51]
	s_wait_xcnt 0x0
	s_lshl_b32 s58, s5, 1
	ds_store_b8 v25, v26 offset:6660
	s_ashr_i32 s59, s58, 31
	s_delay_alu instid0(SALU_CYCLE_1)
	s_lshl_b64 s[62:63], s[58:59], 3
	s_lshl_b64 s[58:59], s[58:59], 2
	s_add_nc_u64 s[62:63], s[36:37], s[62:63]
	s_add_nc_u64 s[58:59], s[38:39], s[58:59]
	s_clause 0x2
	global_store_b128 v25, v[6:9], s[62:63]
	global_store_b32 v25, v10, s[60:61]
	global_store_b64 v25, v[4:5], s[58:59]
.LBB7_28:                               ;   in Loop: Header=BB7_4 Depth=1
	s_wait_xcnt 0x0
	s_or_b32 exec_lo, exec_lo, s49
	s_add_co_i32 s29, s29, 2
	s_mov_b32 s49, 0
	s_mov_b32 s62, 1
.LBB7_29:                               ;   in Loop: Header=BB7_4 Depth=1
	s_wait_storecnt_dscnt 0x0
	s_barrier_signal -1
	s_barrier_wait -1
	ds_load_u16 v4, v25 offset:6660
	s_wait_dscnt 0x0
	v_readfirstlane_b32 s5, v4
	s_bitcmp1_b32 s5, 0
	s_cselect_b32 s60, -1, 0
	s_bitcmp1_b32 s5, 8
	s_cselect_b32 s5, -1, 0
	s_delay_alu instid0(SALU_CYCLE_1) | instskip(NEXT) | instid1(SALU_CYCLE_1)
	s_xor_b32 s58, s5, -1
	s_and_b32 s58, s60, s58
	s_cmp_lt_i32 s49, s29
	s_cselect_b32 s59, -1, 0
	s_delay_alu instid0(SALU_CYCLE_1) | instskip(NEXT) | instid1(SALU_CYCLE_1)
	s_and_b32 s58, s58, s59
	s_and_not1_b32 vcc_lo, exec_lo, s58
	s_cbranch_vccnz .LBB7_70
; %bb.30:                               ;   in Loop: Header=BB7_4 Depth=1
	v_cndmask_b32_e64 v3, s21, v3, s4
	v_cndmask_b32_e64 v2, s20, v2, s4
	s_add_co_i32 s5, s48, s53
	s_lshl_b32 s70, s48, 1
	s_lshl_b32 s71, s5, 1
	s_cmp_gt_i32 s69, 1
	v_cmp_gt_f64_e32 vcc_lo, s[30:31], v[2:3]
	s_cselect_b32 s69, -1, 0
	s_not_b32 s5, s48
	s_add_nc_u64 s[58:59], s[44:45], s[6:7]
	s_add_co_i32 s68, s5, s68
	v_cndmask_b32_e64 v21, v3, s31, vcc_lo
	v_cndmask_b32_e64 v20, v2, s30, vcc_lo
	s_branch .LBB7_32
.LBB7_31:                               ;   in Loop: Header=BB7_32 Depth=2
	s_or_b32 exec_lo, exec_lo, s5
	s_wait_dscnt 0x0
	s_barrier_signal -1
	s_barrier_wait -1
	ds_load_u16 v2, v25 offset:6660
	s_add_co_i32 s49, s49, 1
	s_wait_dscnt 0x0
	v_readfirstlane_b32 s5, v2
	s_bitcmp1_b32 s5, 0
	s_cselect_b32 s60, -1, 0
	s_bitcmp1_b32 s5, 8
	s_cselect_b32 s5, -1, 0
	s_delay_alu instid0(SALU_CYCLE_1) | instskip(NEXT) | instid1(SALU_CYCLE_1)
	s_xor_b32 s6, s5, -1
	s_and_b32 s6, s60, s6
	s_cmp_lt_i32 s49, s29
	s_cselect_b32 s7, -1, 0
	s_delay_alu instid0(SALU_CYCLE_1) | instskip(NEXT) | instid1(SALU_CYCLE_1)
	s_and_b32 s6, s6, s7
	s_and_b32 vcc_lo, exec_lo, s6
	s_cbranch_vccz .LBB7_71
.LBB7_32:                               ;   Parent Loop BB7_4 Depth=1
                                        ; =>  This Loop Header: Depth=2
                                        ;       Child Loop BB7_37 Depth 3
                                        ;         Child Loop BB7_40 Depth 4
                                        ;         Child Loop BB7_54 Depth 4
	;; [unrolled: 1-line block ×3, first 2 shown]
	s_and_saveexec_b32 s5, s0
; %bb.33:                               ;   in Loop: Header=BB7_32 Depth=2
	ds_store_b32 v25, v25 offset:6656
; %bb.34:                               ;   in Loop: Header=BB7_32 Depth=2
	s_or_b32 exec_lo, exec_lo, s5
	s_bitcmp0_b32 s49, 0
	s_cselect_b32 s5, -1, 0
	s_delay_alu instid0(SALU_CYCLE_1)
	s_and_b32 s6, s5, exec_lo
	s_cselect_b32 s63, s70, s71
	s_cmp_lt_i32 s62, 1
	s_cbranch_scc1 .LBB7_66
; %bb.35:                               ;   in Loop: Header=BB7_32 Depth=2
	s_and_b32 s5, s5, exec_lo
	s_cselect_b32 s72, s71, s70
	s_mov_b32 s73, 0
	s_branch .LBB7_37
.LBB7_36:                               ;   in Loop: Header=BB7_37 Depth=3
	s_or_b32 exec_lo, exec_lo, s6
	s_addk_co_i32 s73, 0x80
	s_wait_dscnt 0x0
	s_cmp_ge_i32 s73, s62
	s_barrier_signal -1
	s_barrier_wait -1
	s_cbranch_scc1 .LBB7_66
.LBB7_37:                               ;   Parent Loop BB7_4 Depth=1
                                        ;     Parent Loop BB7_32 Depth=2
                                        ; =>    This Loop Header: Depth=3
                                        ;         Child Loop BB7_40 Depth 4
                                        ;         Child Loop BB7_54 Depth 4
	;; [unrolled: 1-line block ×3, first 2 shown]
	v_add_nc_u32_e32 v2, s73, v0
	s_delay_alu instid0(VALU_DEP_1)
	v_cmp_gt_i32_e64 s5, s62, v2
	s_and_saveexec_b32 s74, s5
	s_cbranch_execz .LBB7_50
; %bb.38:                               ;   in Loop: Header=BB7_37 Depth=3
	v_lshl_add_u32 v4, v2, 1, s72
	s_and_not1_b32 vcc_lo, exec_lo, s69
	s_delay_alu instid0(VALU_DEP_1) | instskip(NEXT) | instid1(VALU_DEP_1)
	v_ashrrev_i32_e32 v5, 31, v4
	v_lshl_add_u64 v[2:3], v[4:5], 3, s[36:37]
	global_load_b128 v[6:9], v[2:3], off
	global_load_b64 v[2:3], v25, s[56:57]
	s_wait_loadcnt 0x1
	v_add_f64_e32 v[10:11], v[6:7], v[8:9]
	s_wait_loadcnt 0x0
	s_delay_alu instid0(VALU_DEP_1) | instskip(SKIP_4) | instid1(VALU_DEP_1)
	v_fmac_f64_e32 v[2:3], -0.5, v[10:11]
	v_mul_f64_e32 v[10:11], 0.5, v[10:11]
	v_lshl_add_u64 v[4:5], v[4:5], 2, s[38:39]
	global_load_b64 v[4:5], v[4:5], off
	v_cmp_ge_f64_e64 s6, s[30:31], v[2:3]
	v_cndmask_b32_e64 v12, 0, 1, s6
	s_cbranch_vccnz .LBB7_41
; %bb.39:                               ;   in Loop: Header=BB7_37 Depth=3
	v_cmp_gt_f64_e64 s7, v[2:3], -s[30:31]
	s_xor_b32 s75, s31, 0x80000000
	s_mov_b64 s[60:61], s[54:55]
	s_mov_b32 s76, s68
	s_and_b32 s6, s6, s7
	s_delay_alu instid0(SALU_CYCLE_1)
	v_cndmask_b32_e64 v3, v3, s75, s6
	v_cndmask_b32_e64 v2, v2, s30, s6
	s_mov_b64 s[6:7], s[58:59]
.LBB7_40:                               ;   Parent Loop BB7_4 Depth=1
                                        ;     Parent Loop BB7_32 Depth=2
                                        ;       Parent Loop BB7_37 Depth=3
                                        ; =>      This Inner Loop Header: Depth=4
	s_clause 0x1
	global_load_b64 v[28:29], v25, s[6:7]
	global_load_b64 v[30:31], v25, s[60:61]
	s_add_co_i32 s76, s76, -1
	s_wait_xcnt 0x0
	s_add_nc_u64 s[60:61], s[60:61], 8
	s_add_nc_u64 s[6:7], s[6:7], 8
	s_wait_loadcnt 0x1
	v_div_scale_f64 v[32:33], null, v[2:3], v[2:3], v[28:29]
	v_div_scale_f64 v[38:39], vcc_lo, v[28:29], v[2:3], v[28:29]
	s_wait_loadcnt 0x0
	v_add_f64_e64 v[30:31], v[30:31], -v[10:11]
	s_delay_alu instid0(VALU_DEP_3) | instskip(SKIP_1) | instid1(TRANS32_DEP_1)
	v_rcp_f64_e32 v[34:35], v[32:33]
	v_nop
	v_fma_f64 v[36:37], -v[32:33], v[34:35], 1.0
	s_delay_alu instid0(VALU_DEP_1) | instskip(NEXT) | instid1(VALU_DEP_1)
	v_fmac_f64_e32 v[34:35], v[34:35], v[36:37]
	v_fma_f64 v[36:37], -v[32:33], v[34:35], 1.0
	s_delay_alu instid0(VALU_DEP_1) | instskip(NEXT) | instid1(VALU_DEP_1)
	v_fmac_f64_e32 v[34:35], v[34:35], v[36:37]
	v_mul_f64_e32 v[36:37], v[38:39], v[34:35]
	s_delay_alu instid0(VALU_DEP_1) | instskip(NEXT) | instid1(VALU_DEP_1)
	v_fma_f64 v[32:33], -v[32:33], v[36:37], v[38:39]
	v_div_fmas_f64 v[32:33], v[32:33], v[34:35], v[36:37]
	s_delay_alu instid0(VALU_DEP_1) | instskip(NEXT) | instid1(VALU_DEP_1)
	v_div_fixup_f64 v[2:3], v[32:33], v[2:3], v[28:29]
	v_add_f64_e64 v[2:3], v[30:31], -v[2:3]
	s_delay_alu instid0(VALU_DEP_1)
	v_cmp_ge_f64_e32 vcc_lo, s[30:31], v[2:3]
	v_cmp_gt_f64_e64 s77, v[2:3], -s[30:31]
	v_add_co_ci_u32_e64 v12, null, 0, v12, vcc_lo
	s_and_b32 s77, vcc_lo, s77
	s_cmp_lg_u32 s76, 0
	v_cndmask_b32_e64 v3, v3, s75, s77
	v_cndmask_b32_e64 v2, v2, s30, s77
	s_cbranch_scc1 .LBB7_40
.LBB7_41:                               ;   in Loop: Header=BB7_37 Depth=3
	s_wait_loadcnt 0x0
	s_delay_alu instid0(VALU_DEP_1) | instskip(SKIP_1) | instid1(VALU_DEP_1)
	v_max_i32_e32 v2, v12, v4
	s_mov_b32 s6, exec_lo
	v_min_i32_e32 v3, v2, v5
	s_delay_alu instid0(VALU_DEP_1)
	v_cmpx_ne_u32_e64 v3, v4
	s_xor_b32 s6, exec_lo, s6
	s_cbranch_execz .LBB7_47
; %bb.42:                               ;   in Loop: Header=BB7_37 Depth=3
	s_mov_b32 s7, exec_lo
	v_cmpx_le_i32_e64 v5, v2
	s_xor_b32 s7, exec_lo, s7
	s_cbranch_execz .LBB7_44
; %bb.43:                               ;   in Loop: Header=BB7_37 Depth=3
	v_dual_mov_b32 v8, v10 :: v_dual_mov_b32 v9, v11
	v_mov_b32_e32 v2, v4
                                        ; implicit-def: $vgpr10_vgpr11
	ds_store_b32 v1, v25
	ds_store_b128 v22, v[6:9]
	ds_store_b64 v23, v[2:3]
                                        ; implicit-def: $vgpr6_vgpr7
.LBB7_44:                               ;   in Loop: Header=BB7_37 Depth=3
	s_and_not1_saveexec_b32 s7, s7
	s_cbranch_execz .LBB7_46
; %bb.45:                               ;   in Loop: Header=BB7_37 Depth=3
	v_dual_mov_b32 v28, v6 :: v_dual_mov_b32 v29, v7
	v_dual_mov_b32 v30, v10 :: v_dual_mov_b32 v31, v11
	;; [unrolled: 1-line block ×4, first 2 shown]
	ds_store_b32 v1, v26
	ds_store_b128 v22, v[28:31]
	ds_store_b128 v22, v[10:13] offset:16
	ds_store_b128 v23, v[2:5]
.LBB7_46:                               ;   in Loop: Header=BB7_37 Depth=3
	s_or_b32 exec_lo, exec_lo, s7
                                        ; implicit-def: $vgpr10_vgpr11
                                        ; implicit-def: $vgpr8_vgpr9
.LBB7_47:                               ;   in Loop: Header=BB7_37 Depth=3
	s_and_not1_saveexec_b32 s6, s6
	s_cbranch_execz .LBB7_49
; %bb.48:                               ;   in Loop: Header=BB7_37 Depth=3
	v_dual_mov_b32 v12, v8 :: v_dual_mov_b32 v13, v9
	ds_store_b32 v1, v25
	ds_store_b128 v22, v[10:13]
	ds_store_b64 v23, v[4:5]
.LBB7_49:                               ;   in Loop: Header=BB7_37 Depth=3
	s_or_b32 exec_lo, exec_lo, s6
.LBB7_50:                               ;   in Loop: Header=BB7_37 Depth=3
	s_delay_alu instid0(SALU_CYCLE_1)
	s_or_b32 exec_lo, exec_lo, s74
	s_wait_dscnt 0x0
	s_barrier_signal -1
	s_barrier_wait -1
	s_and_saveexec_b32 s6, s5
	s_cbranch_execz .LBB7_64
; %bb.51:                               ;   in Loop: Header=BB7_37 Depth=3
	v_mov_b32_e32 v5, 0
	s_and_saveexec_b32 s5, s1
	s_cbranch_execz .LBB7_61
; %bb.52:                               ;   in Loop: Header=BB7_37 Depth=3
	v_dual_mov_b32 v5, 0 :: v_dual_mov_b32 v3, 0
	s_mov_b32 s60, -1
	s_and_saveexec_b32 s7, s2
	s_cbranch_execz .LBB7_56
; %bb.53:                               ;   in Loop: Header=BB7_37 Depth=3
	v_dual_mov_b32 v3, 0 :: v_dual_mov_b32 v2, 0
	v_dual_mov_b32 v5, 0 :: v_dual_mov_b32 v4, 0
	v_mov_b32_e32 v6, v24
	s_movk_i32 s61, 0x1800
	s_mov_b32 s60, 0
.LBB7_54:                               ;   Parent Loop BB7_4 Depth=1
                                        ;     Parent Loop BB7_32 Depth=2
                                        ;       Parent Loop BB7_37 Depth=3
                                        ; =>      This Inner Loop Header: Depth=4
	s_delay_alu instid0(VALU_DEP_1)
	v_dual_mov_b32 v7, s61 :: v_dual_add_nc_u32 v6, -4, v6
	s_add_co_i32 s61, s61, 16
	ds_load_b128 v[8:11], v7
	v_cmp_eq_u32_e32 vcc_lo, 0, v6
	s_or_b32 s60, vcc_lo, s60
	s_wait_dscnt 0x0
	v_dual_add_nc_u32 v3, v9, v3 :: v_dual_add_nc_u32 v2, v8, v2
	v_dual_add_nc_u32 v5, v11, v5 :: v_dual_add_nc_u32 v4, v10, v4
	s_and_not1_b32 exec_lo, exec_lo, s60
	s_cbranch_execnz .LBB7_54
; %bb.55:                               ;   in Loop: Header=BB7_37 Depth=3
	s_or_b32 exec_lo, exec_lo, s60
	s_delay_alu instid0(VALU_DEP_1) | instskip(SKIP_1) | instid1(VALU_DEP_1)
	v_add_nc_u32_e32 v3, v5, v3
	s_or_not1_b32 s60, s3, exec_lo
	v_add3_u32 v5, v4, v2, v3
	v_mov_b32_e32 v3, v24
.LBB7_56:                               ;   in Loop: Header=BB7_37 Depth=3
	s_or_b32 exec_lo, exec_lo, s7
	s_and_saveexec_b32 s7, s60
	s_cbranch_execz .LBB7_60
; %bb.57:                               ;   in Loop: Header=BB7_37 Depth=3
	s_delay_alu instid0(VALU_DEP_1)
	v_sub_nc_u32_e32 v2, v0, v3
	v_lshl_or_b32 v3, v3, 2, 0x1800
	s_mov_b32 s60, 0
.LBB7_58:                               ;   Parent Loop BB7_4 Depth=1
                                        ;     Parent Loop BB7_32 Depth=2
                                        ;       Parent Loop BB7_37 Depth=3
                                        ; =>      This Inner Loop Header: Depth=4
	ds_load_b32 v4, v3
	v_dual_add_nc_u32 v2, -1, v2 :: v_dual_add_nc_u32 v3, 4, v3
	s_delay_alu instid0(VALU_DEP_1)
	v_cmp_eq_u32_e32 vcc_lo, 0, v2
	s_or_b32 s60, vcc_lo, s60
	s_wait_dscnt 0x0
	v_add_nc_u32_e32 v5, v4, v5
	s_and_not1_b32 exec_lo, exec_lo, s60
	s_cbranch_execnz .LBB7_58
; %bb.59:                               ;   in Loop: Header=BB7_37 Depth=3
	s_or_b32 exec_lo, exec_lo, s60
.LBB7_60:                               ;   in Loop: Header=BB7_37 Depth=3
	s_delay_alu instid0(SALU_CYCLE_1)
	s_or_b32 exec_lo, exec_lo, s7
.LBB7_61:                               ;   in Loop: Header=BB7_37 Depth=3
	s_delay_alu instid0(SALU_CYCLE_1)
	s_or_b32 exec_lo, exec_lo, s5
	ds_load_b32 v2, v25 offset:6656
	ds_load_b32 v4, v1
	ds_load_b128 v[8:11], v22
	ds_load_b64 v[12:13], v23
	s_mov_b32 s5, exec_lo
	s_wait_dscnt 0x3
	v_add3_u32 v2, v5, v0, v2
	s_delay_alu instid0(VALU_DEP_1) | instskip(NEXT) | instid1(VALU_DEP_1)
	v_lshl_add_u32 v6, v2, 1, s63
	v_ashrrev_i32_e32 v7, 31, v6
	s_delay_alu instid0(VALU_DEP_1)
	v_lshl_add_u64 v[2:3], v[6:7], 3, s[36:37]
	v_lshl_add_u64 v[6:7], v[6:7], 2, s[38:39]
	s_wait_dscnt 0x1
	global_store_b128 v[2:3], v[8:11], off
	s_wait_dscnt 0x0
	global_store_b64 v[6:7], v[12:13], off
	s_wait_xcnt 0x0
	v_cmpx_ne_u32_e32 0, v4
	s_cbranch_execz .LBB7_63
; %bb.62:                               ;   in Loop: Header=BB7_37 Depth=3
	ds_load_b128 v[8:11], v22 offset:16
	ds_load_b64 v[12:13], v23 offset:8
	s_wait_dscnt 0x1
	global_store_b128 v[2:3], v[8:11], off offset:16
	s_wait_dscnt 0x0
	global_store_b64 v[6:7], v[12:13], off offset:8
.LBB7_63:                               ;   in Loop: Header=BB7_37 Depth=3
	s_wait_xcnt 0x0
	s_or_b32 exec_lo, exec_lo, s5
.LBB7_64:                               ;   in Loop: Header=BB7_37 Depth=3
	s_delay_alu instid0(SALU_CYCLE_1)
	s_or_b32 exec_lo, exec_lo, s6
	s_sub_co_i32 s5, s62, s73
	s_wait_storecnt 0x0
	s_min_i32 s5, s5, 0x80
	s_barrier_signal -1
	s_add_co_i32 s6, s5, -1
	s_barrier_wait -1
	v_cmp_eq_u32_e32 vcc_lo, s6, v0
	s_and_saveexec_b32 s6, vcc_lo
	s_cbranch_execz .LBB7_36
; %bb.65:                               ;   in Loop: Header=BB7_37 Depth=3
	ds_load_b32 v2, v1
	ds_load_b32 v3, v25 offset:6656
	v_add_nc_u32_e32 v4, s5, v5
	s_wait_dscnt 0x0
	s_delay_alu instid0(VALU_DEP_1)
	v_add3_u32 v2, v4, v2, v3
	ds_store_b32 v25, v2 offset:6656
	s_branch .LBB7_36
.LBB7_66:                               ;   in Loop: Header=BB7_32 Depth=2
	ds_load_b32 v2, v25 offset:6656
	s_wait_dscnt 0x0
	v_readfirstlane_b32 s62, v2
	s_and_saveexec_b32 s5, s0
	s_cbranch_execz .LBB7_31
; %bb.67:                               ;   in Loop: Header=BB7_32 Depth=2
	ds_load_b128 v[6:9], v25
	s_wait_dscnt 0x0
	v_cmp_lt_f64_e64 vcc_lo, |v[6:7]|, |v[8:9]|
	v_dual_cndmask_b32 v3, v7, v9 :: v_dual_cndmask_b32 v2, v6, v8
	v_add_f64_e64 v[6:7], v[8:9], -v[6:7]
	s_delay_alu instid0(VALU_DEP_2) | instskip(NEXT) | instid1(VALU_DEP_1)
	v_mul_f64_e64 v[2:3], v[16:17], |v[2:3]|
	v_cmp_lt_f64_e32 vcc_lo, v[20:21], v[2:3]
	v_dual_cndmask_b32 v3, v21, v3 :: v_dual_cndmask_b32 v2, v20, v2
	s_delay_alu instid0(VALU_DEP_1)
	v_cmp_nlt_f64_e32 vcc_lo, v[6:7], v[2:3]
	s_cbranch_vccnz .LBB7_31
; %bb.68:                               ;   in Loop: Header=BB7_32 Depth=2
	ds_store_b8 v25, v26 offset:6661
	s_branch .LBB7_31
.LBB7_69:                               ;   in Loop: Header=BB7_4 Depth=1
                                        ; implicit-def: $sgpr49
                                        ; implicit-def: $sgpr63
                                        ; implicit-def: $sgpr29
                                        ; implicit-def: $sgpr62
                                        ; implicit-def: $vgpr5
	s_cbranch_execz .LBB7_3
	s_branch .LBB7_83
.LBB7_70:                               ;   in Loop: Header=BB7_4 Depth=1
	s_mov_b32 s63, s65
.LBB7_71:                               ;   in Loop: Header=BB7_4 Depth=1
	s_and_b32 s6, s0, s60
	s_delay_alu instid0(SALU_CYCLE_1)
	s_and_saveexec_b32 s56, s6
	s_cbranch_execz .LBB7_82
; %bb.72:                               ;   in Loop: Header=BB7_4 Depth=1
	s_cmp_lt_i32 s62, 1
	s_cbranch_scc1 .LBB7_80
; %bb.73:                               ;   in Loop: Header=BB7_4 Depth=1
	s_add_co_i32 s6, s28, 1
	s_not_b32 s7, s28
	s_and_b32 s54, s5, exec_lo
	s_cselect_b32 s57, s6, s7
	s_mov_b32 s58, 0
	s_mov_b32 s59, 0
	s_branch .LBB7_75
.LBB7_74:                               ;   in Loop: Header=BB7_75 Depth=2
	s_add_co_i32 s58, s58, 1
	s_delay_alu instid0(SALU_CYCLE_1)
	s_cmp_eq_u32 s58, s62
	s_cbranch_scc1 .LBB7_79
.LBB7_75:                               ;   Parent Loop BB7_4 Depth=1
                                        ; =>  This Loop Header: Depth=2
                                        ;       Child Loop BB7_77 Depth 3
	s_lshl_b32 s6, s58, 1
	s_delay_alu instid0(SALU_CYCLE_1) | instskip(NEXT) | instid1(SALU_CYCLE_1)
	s_add_co_i32 s6, s6, s63
	s_ashr_i32 s7, s6, 31
	s_delay_alu instid0(SALU_CYCLE_1) | instskip(NEXT) | instid1(SALU_CYCLE_1)
	s_lshl_b64 s[54:55], s[6:7], 2
	s_add_nc_u64 s[54:55], s[38:39], s[54:55]
	global_load_b64 v[2:3], v25, s[54:55]
	s_wait_loadcnt 0x0
	s_wait_xcnt 0x0
	v_readfirstlane_b32 s54, v2
	v_readfirstlane_b32 s60, v3
	s_sub_co_i32 s61, s60, s54
	s_delay_alu instid0(SALU_CYCLE_1)
	s_cmp_lt_i32 s61, 1
	s_cbranch_scc1 .LBB7_74
; %bb.76:                               ;   in Loop: Header=BB7_75 Depth=2
	s_lshl_b64 s[6:7], s[6:7], 3
	s_delay_alu instid0(SALU_CYCLE_1) | instskip(SKIP_3) | instid1(SALU_CYCLE_1)
	s_add_nc_u64 s[6:7], s[36:37], s[6:7]
	global_load_b128 v[2:5], v25, s[6:7]
	s_wait_xcnt 0x0
	s_add_co_i32 s6, s48, s59
	s_ashr_i32 s7, s6, 31
	s_delay_alu instid0(SALU_CYCLE_1)
	s_lshl_b64 s[54:55], s[6:7], 3
	s_lshl_b64 s[68:69], s[6:7], 2
	s_add_nc_u64 s[6:7], s[12:13], s[54:55]
	s_add_nc_u64 s[54:55], s[10:11], s[68:69]
	s_mov_b32 s68, 0
	s_wait_loadcnt 0x0
	v_add_f64_e32 v[2:3], v[2:3], v[4:5]
	s_delay_alu instid0(VALU_DEP_1)
	v_mul_f64_e32 v[2:3], 0.5, v[2:3]
.LBB7_77:                               ;   Parent Loop BB7_4 Depth=1
                                        ;     Parent Loop BB7_75 Depth=2
                                        ; =>    This Inner Loop Header: Depth=3
	v_mov_b32_e32 v4, s57
	s_add_co_i32 s68, s68, 1
	global_store_b64 v25, v[2:3], s[6:7]
	s_wait_xcnt 0x0
	s_add_nc_u64 s[6:7], s[6:7], 8
	s_cmp_ge_i32 s68, s61
	global_store_b32 v25, v4, s[54:55]
	s_wait_xcnt 0x0
	s_add_nc_u64 s[54:55], s[54:55], 4
	s_cbranch_scc0 .LBB7_77
; %bb.78:                               ;   in Loop: Header=BB7_75 Depth=2
	s_add_co_i32 s59, s59, s68
	s_branch .LBB7_74
.LBB7_79:                               ;   in Loop: Header=BB7_4 Depth=1
	v_mov_b32_e32 v5, s60
.LBB7_80:                               ;   in Loop: Header=BB7_4 Depth=1
	s_xor_b32 s5, s5, -1
	s_delay_alu instid0(SALU_CYCLE_1)
	s_and_b32 vcc_lo, exec_lo, s5
	s_cbranch_vccz .LBB7_82
; %bb.81:                               ;   in Loop: Header=BB7_4 Depth=1
	global_store_b32 v25, v26, s[8:9]
.LBB7_82:                               ;   in Loop: Header=BB7_4 Depth=1
	s_wait_xcnt 0x0
	s_or_b32 exec_lo, exec_lo, s56
	s_branch .LBB7_3
.LBB7_83:                               ;   in Loop: Header=BB7_4 Depth=1
	s_and_saveexec_b32 s5, s0
	s_cbranch_execz .LBB7_2
; %bb.84:                               ;   in Loop: Header=BB7_4 Depth=1
	v_mov_b32_e32 v2, s48
	s_and_not1_b32 vcc_lo, exec_lo, s52
	s_mov_b32 s6, -1
	global_load_b64 v[2:3], v2, s[24:25] scale_offset
	s_cbranch_vccnz .LBB7_89
; %bb.85:                               ;   in Loop: Header=BB7_4 Depth=1
	global_load_b64 v[6:7], v25, s[16:17]
	s_wait_loadcnt 0x1
	v_add_f64_e64 v[4:5], v[2:3], -s[30:31]
	s_mov_b32 s6, 0
	s_wait_loadcnt 0x0
	s_delay_alu instid0(VALU_DEP_1)
	v_cmp_lt_f64_e32 vcc_lo, v[6:7], v[4:5]
	v_cmp_nlt_f64_e64 s7, v[6:7], v[4:5]
	s_cbranch_vccz .LBB7_87
; %bb.86:                               ;   in Loop: Header=BB7_4 Depth=1
	global_load_b64 v[6:7], v25, s[16:17] offset:8
	s_mov_b32 s6, -1
	s_wait_loadcnt 0x0
	v_cmp_nge_f64_e64 s7, v[6:7], v[4:5]
.LBB7_87:                               ;   in Loop: Header=BB7_4 Depth=1
	s_delay_alu instid0(VALU_DEP_1)
	s_and_not1_b32 vcc_lo, exec_lo, s7
	s_cbranch_vccnz .LBB7_89
; %bb.88:                               ;   in Loop: Header=BB7_4 Depth=1
	s_add_nc_u64 s[54:55], s[18:19], s[50:51]
	s_mov_b32 s6, 0
	global_store_b32 v25, v25, s[54:55]
.LBB7_89:                               ;   in Loop: Header=BB7_4 Depth=1
	s_and_b32 vcc_lo, exec_lo, s6
	s_cbranch_vccz .LBB7_2
; %bb.90:                               ;   in Loop: Header=BB7_4 Depth=1
	s_ashr_i32 s49, s48, 31
	s_add_co_i32 s29, s28, 1
	s_lshl_b64 s[6:7], s[48:49], 3
	v_mov_b32_e32 v4, s29
	s_lshl_b64 s[48:49], s[48:49], 2
	s_add_nc_u64 s[6:7], s[12:13], s[6:7]
	s_add_nc_u64 s[50:51], s[18:19], s[50:51]
	s_add_nc_u64 s[48:49], s[10:11], s[48:49]
	s_wait_loadcnt 0x0
	s_clause 0x2
	global_store_b64 v25, v[2:3], s[6:7]
	global_store_b32 v25, v26, s[50:51]
	global_store_b32 v25, v4, s[48:49]
	s_branch .LBB7_2
.LBB7_91:
	s_endpgm
	.section	.rodata,"a",@progbits
	.p2align	6, 0x0
	.amdhsa_kernel _ZN9rocsolver6v33100L22stebz_bisection_kernelIdPdEEv15rocblas_erange_iT_T0_iiS5_iiPiPS4_lS6_lS6_lS6_S6_S7_S7_S7_S7_S6_S4_S4_
		.amdhsa_group_segment_fixed_size 6664
		.amdhsa_private_segment_fixed_size 0
		.amdhsa_kernarg_size 176
		.amdhsa_user_sgpr_count 2
		.amdhsa_user_sgpr_dispatch_ptr 0
		.amdhsa_user_sgpr_queue_ptr 0
		.amdhsa_user_sgpr_kernarg_segment_ptr 1
		.amdhsa_user_sgpr_dispatch_id 0
		.amdhsa_user_sgpr_kernarg_preload_length 0
		.amdhsa_user_sgpr_kernarg_preload_offset 0
		.amdhsa_user_sgpr_private_segment_size 0
		.amdhsa_wavefront_size32 1
		.amdhsa_uses_dynamic_stack 0
		.amdhsa_enable_private_segment 0
		.amdhsa_system_sgpr_workgroup_id_x 1
		.amdhsa_system_sgpr_workgroup_id_y 1
		.amdhsa_system_sgpr_workgroup_id_z 0
		.amdhsa_system_sgpr_workgroup_info 0
		.amdhsa_system_vgpr_workitem_id 0
		.amdhsa_next_free_vgpr 42
		.amdhsa_next_free_sgpr 78
		.amdhsa_named_barrier_count 0
		.amdhsa_reserve_vcc 1
		.amdhsa_float_round_mode_32 0
		.amdhsa_float_round_mode_16_64 0
		.amdhsa_float_denorm_mode_32 3
		.amdhsa_float_denorm_mode_16_64 3
		.amdhsa_fp16_overflow 0
		.amdhsa_memory_ordered 1
		.amdhsa_forward_progress 1
		.amdhsa_inst_pref_size 45
		.amdhsa_round_robin_scheduling 0
		.amdhsa_exception_fp_ieee_invalid_op 0
		.amdhsa_exception_fp_denorm_src 0
		.amdhsa_exception_fp_ieee_div_zero 0
		.amdhsa_exception_fp_ieee_overflow 0
		.amdhsa_exception_fp_ieee_underflow 0
		.amdhsa_exception_fp_ieee_inexact 0
		.amdhsa_exception_int_div_zero 0
	.end_amdhsa_kernel
	.section	.text._ZN9rocsolver6v33100L22stebz_bisection_kernelIdPdEEv15rocblas_erange_iT_T0_iiS5_iiPiPS4_lS6_lS6_lS6_S6_S7_S7_S7_S7_S6_S4_S4_,"axG",@progbits,_ZN9rocsolver6v33100L22stebz_bisection_kernelIdPdEEv15rocblas_erange_iT_T0_iiS5_iiPiPS4_lS6_lS6_lS6_S6_S7_S7_S7_S7_S6_S4_S4_,comdat
.Lfunc_end7:
	.size	_ZN9rocsolver6v33100L22stebz_bisection_kernelIdPdEEv15rocblas_erange_iT_T0_iiS5_iiPiPS4_lS6_lS6_lS6_S6_S7_S7_S7_S7_S6_S4_S4_, .Lfunc_end7-_ZN9rocsolver6v33100L22stebz_bisection_kernelIdPdEEv15rocblas_erange_iT_T0_iiS5_iiPiPS4_lS6_lS6_lS6_S6_S7_S7_S7_S7_S6_S4_S4_
                                        ; -- End function
	.set _ZN9rocsolver6v33100L22stebz_bisection_kernelIdPdEEv15rocblas_erange_iT_T0_iiS5_iiPiPS4_lS6_lS6_lS6_S6_S7_S7_S7_S7_S6_S4_S4_.num_vgpr, 42
	.set _ZN9rocsolver6v33100L22stebz_bisection_kernelIdPdEEv15rocblas_erange_iT_T0_iiS5_iiPiPS4_lS6_lS6_lS6_S6_S7_S7_S7_S7_S6_S4_S4_.num_agpr, 0
	.set _ZN9rocsolver6v33100L22stebz_bisection_kernelIdPdEEv15rocblas_erange_iT_T0_iiS5_iiPiPS4_lS6_lS6_lS6_S6_S7_S7_S7_S7_S6_S4_S4_.numbered_sgpr, 78
	.set _ZN9rocsolver6v33100L22stebz_bisection_kernelIdPdEEv15rocblas_erange_iT_T0_iiS5_iiPiPS4_lS6_lS6_lS6_S6_S7_S7_S7_S7_S6_S4_S4_.num_named_barrier, 0
	.set _ZN9rocsolver6v33100L22stebz_bisection_kernelIdPdEEv15rocblas_erange_iT_T0_iiS5_iiPiPS4_lS6_lS6_lS6_S6_S7_S7_S7_S7_S6_S4_S4_.private_seg_size, 0
	.set _ZN9rocsolver6v33100L22stebz_bisection_kernelIdPdEEv15rocblas_erange_iT_T0_iiS5_iiPiPS4_lS6_lS6_lS6_S6_S7_S7_S7_S7_S6_S4_S4_.uses_vcc, 1
	.set _ZN9rocsolver6v33100L22stebz_bisection_kernelIdPdEEv15rocblas_erange_iT_T0_iiS5_iiPiPS4_lS6_lS6_lS6_S6_S7_S7_S7_S7_S6_S4_S4_.uses_flat_scratch, 0
	.set _ZN9rocsolver6v33100L22stebz_bisection_kernelIdPdEEv15rocblas_erange_iT_T0_iiS5_iiPiPS4_lS6_lS6_lS6_S6_S7_S7_S7_S7_S6_S4_S4_.has_dyn_sized_stack, 0
	.set _ZN9rocsolver6v33100L22stebz_bisection_kernelIdPdEEv15rocblas_erange_iT_T0_iiS5_iiPiPS4_lS6_lS6_lS6_S6_S7_S7_S7_S7_S6_S4_S4_.has_recursion, 0
	.set _ZN9rocsolver6v33100L22stebz_bisection_kernelIdPdEEv15rocblas_erange_iT_T0_iiS5_iiPiPS4_lS6_lS6_lS6_S6_S7_S7_S7_S7_S6_S4_S4_.has_indirect_call, 0
	.section	.AMDGPU.csdata,"",@progbits
; Kernel info:
; codeLenInByte = 5760
; TotalNumSgprs: 80
; NumVgprs: 42
; ScratchSize: 0
; MemoryBound: 0
; FloatMode: 240
; IeeeMode: 1
; LDSByteSize: 6664 bytes/workgroup (compile time only)
; SGPRBlocks: 0
; VGPRBlocks: 2
; NumSGPRsForWavesPerEU: 80
; NumVGPRsForWavesPerEU: 42
; NamedBarCnt: 0
; Occupancy: 16
; WaveLimiterHint : 1
; COMPUTE_PGM_RSRC2:SCRATCH_EN: 0
; COMPUTE_PGM_RSRC2:USER_SGPR: 2
; COMPUTE_PGM_RSRC2:TRAP_HANDLER: 0
; COMPUTE_PGM_RSRC2:TGID_X_EN: 1
; COMPUTE_PGM_RSRC2:TGID_Y_EN: 1
; COMPUTE_PGM_RSRC2:TGID_Z_EN: 0
; COMPUTE_PGM_RSRC2:TIDIG_COMP_CNT: 0
	.section	.text._ZN9rocsolver6v33100L22stebz_synthesis_kernelIdPdEEv15rocblas_erange_15rocblas_eorder_iiiT0_iiPiS6_PT_lS6_lS6_liS6_S8_S8_S8_S8_S6_S7_,"axG",@progbits,_ZN9rocsolver6v33100L22stebz_synthesis_kernelIdPdEEv15rocblas_erange_15rocblas_eorder_iiiT0_iiPiS6_PT_lS6_lS6_liS6_S8_S8_S8_S8_S6_S7_,comdat
	.globl	_ZN9rocsolver6v33100L22stebz_synthesis_kernelIdPdEEv15rocblas_erange_15rocblas_eorder_iiiT0_iiPiS6_PT_lS6_lS6_liS6_S8_S8_S8_S8_S6_S7_ ; -- Begin function _ZN9rocsolver6v33100L22stebz_synthesis_kernelIdPdEEv15rocblas_erange_15rocblas_eorder_iiiT0_iiPiS6_PT_lS6_lS6_liS6_S8_S8_S8_S8_S6_S7_
	.p2align	8
	.type	_ZN9rocsolver6v33100L22stebz_synthesis_kernelIdPdEEv15rocblas_erange_15rocblas_eorder_iiiT0_iiPiS6_PT_lS6_lS6_liS6_S8_S8_S8_S8_S6_S7_,@function
_ZN9rocsolver6v33100L22stebz_synthesis_kernelIdPdEEv15rocblas_erange_15rocblas_eorder_iiiT0_iiPiS6_PT_lS6_lS6_liS6_S8_S8_S8_S8_S6_S7_: ; @_ZN9rocsolver6v33100L22stebz_synthesis_kernelIdPdEEv15rocblas_erange_15rocblas_eorder_iiiT0_iiPiS6_PT_lS6_lS6_liS6_S8_S8_S8_S8_S6_S7_
; %bb.0:
	s_clause 0x1
	s_load_b32 s2, s[0:1], 0xb4
	s_load_b32 s3, s[0:1], 0x68
	s_bfe_u32 s4, ttmp6, 0x4000c
	s_and_b32 s5, ttmp6, 15
	s_add_co_i32 s4, s4, 1
	s_getreg_b32 s6, hwreg(HW_REG_IB_STS2, 6, 4)
	s_mul_i32 s4, ttmp9, s4
	s_delay_alu instid0(SALU_CYCLE_1) | instskip(SKIP_4) | instid1(SALU_CYCLE_1)
	s_add_co_i32 s5, s5, s4
	s_wait_kmcnt 0x0
	s_and_b32 s2, s2, 0xffff
	s_cmp_eq_u32 s6, 0
	s_cselect_b32 s4, ttmp9, s5
	v_mad_u32 v0, s4, s2, v0
	s_mov_b32 s2, exec_lo
	s_delay_alu instid0(VALU_DEP_1)
	v_cmpx_gt_i32_e64 s3, v0
	s_cbranch_execz .LBB8_61
; %bb.1:
	s_load_b512 s[4:19], s[0:1], 0x28
	v_ashrrev_i32_e32 v1, 31, v0
	s_load_b128 s[28:31], s[0:1], 0x0
	s_wait_kmcnt 0x0
	global_load_b32 v32, v0, s[6:7] scale_offset
	v_mul_u64_e32 v[6:7], s[18:19], v[0:1]
	v_mul_u64_e32 v[2:3], s[10:11], v[0:1]
	;; [unrolled: 1-line block ×3, first 2 shown]
	s_clause 0x1
	s_load_b256 s[20:27], s[0:1], 0x70
	s_load_b32 s18, s[0:1], 0x10
	v_mul_lo_u32 v8, v0, s30
	s_cmp_eq_u32 s28, 0xe9
	s_delay_alu instid0(VALU_DEP_1) | instskip(SKIP_1) | instid1(VALU_DEP_1)
	v_ashrrev_i32_e32 v9, 31, v8
	s_wait_kmcnt 0x0
	v_lshl_add_u64 v[16:17], v[8:9], 2, s[20:21]
	v_lshl_add_u64 v[20:21], v[6:7], 2, s[16:17]
	s_wait_loadcnt 0x0
	v_cmp_gt_i32_e64 s2, 1, v32
	v_cmp_lt_i32_e32 vcc_lo, 0, v32
	s_cbranch_scc1 .LBB8_12
; %bb.2:
	v_mov_b32_e32 v14, 0
	s_and_saveexec_b32 s3, vcc_lo
	s_cbranch_execz .LBB8_14
; %bb.3:
	v_lshl_add_u64 v[6:7], v[2:3], 3, s[8:9]
	v_lshl_add_u64 v[8:9], v[4:5], 2, s[12:13]
	v_mov_b32_e32 v14, 0
	s_mov_b32 s7, 0
	s_mov_b32 s14, 0
	;; [unrolled: 1-line block ×3, first 2 shown]
	s_branch .LBB8_5
.LBB8_4:                                ;   in Loop: Header=BB8_5 Depth=1
	s_or_b32 exec_lo, exec_lo, s10
	s_add_co_i32 s6, s6, 1
	s_delay_alu instid0(SALU_CYCLE_1) | instskip(SKIP_1) | instid1(SALU_CYCLE_1)
	v_cmp_eq_u32_e32 vcc_lo, s6, v32
	s_or_b32 s14, vcc_lo, s14
	s_and_not1_b32 exec_lo, exec_lo, s14
	s_cbranch_execz .LBB8_13
.LBB8_5:                                ; =>This Loop Header: Depth=1
                                        ;     Child Loop BB8_10 Depth 2
	s_cmp_eq_u32 s6, 0
	s_cbranch_scc1 .LBB8_7
; %bb.6:                                ;   in Loop: Header=BB8_5 Depth=1
	v_lshl_add_u64 v[10:11], s[6:7], 2, v[20:21]
	s_mov_b64 s[10:11], s[6:7]
	global_load_b32 v18, v[10:11], off offset:-4
	s_branch .LBB8_8
.LBB8_7:                                ;   in Loop: Header=BB8_5 Depth=1
	v_mov_b32_e32 v18, 0
	s_mov_b64 s[10:11], 0
.LBB8_8:                                ;   in Loop: Header=BB8_5 Depth=1
	s_wait_xcnt 0x0
	v_lshl_add_u64 v[10:11], s[10:11], 2, v[16:17]
	s_mov_b32 s10, exec_lo
	global_load_b32 v12, v[10:11], off
	s_wait_loadcnt 0x0
	s_wait_xcnt 0x0
	v_cmpx_lt_i32_e32 0, v12
	s_cbranch_execz .LBB8_4
; %bb.9:                                ;   in Loop: Header=BB8_5 Depth=1
	v_ashrrev_i32_e32 v19, 31, v18
	v_ashrrev_i32_e32 v15, 31, v14
	s_mov_b32 s11, 0
	s_mov_b32 s15, 0
	s_delay_alu instid0(VALU_DEP_2)
	v_lshl_add_u64 v[12:13], v[18:19], 3, v[6:7]
	v_lshl_add_u64 v[18:19], v[18:19], 2, v[8:9]
	;; [unrolled: 1-line block ×4, first 2 shown]
.LBB8_10:                               ;   Parent Loop BB8_5 Depth=1
                                        ; =>  This Inner Loop Header: Depth=2
	global_load_b32 v15, v[18:19], off
	s_add_co_i32 s15, s15, 1
	s_wait_xcnt 0x0
	v_add_nc_u64_e32 v[18:19], 4, v[18:19]
	s_wait_loadcnt 0x0
	global_store_b32 v[24:25], v15, off
	global_load_b32 v15, v[10:11], off
	global_load_b64 v[26:27], v[12:13], off
	s_wait_xcnt 0x0
	v_add_nc_u64_e32 v[12:13], 8, v[12:13]
	v_add_nc_u64_e32 v[24:25], 4, v[24:25]
	s_wait_loadcnt 0x1
	v_cmp_ge_i32_e32 vcc_lo, s15, v15
	s_wait_loadcnt 0x0
	global_store_b64 v[22:23], v[26:27], off
	s_wait_xcnt 0x0
	v_add_nc_u64_e32 v[22:23], 8, v[22:23]
	v_add_nc_u32_e32 v15, s15, v14
	s_or_b32 s11, vcc_lo, s11
	s_delay_alu instid0(SALU_CYCLE_1)
	s_and_not1_b32 exec_lo, exec_lo, s11
	s_cbranch_execnz .LBB8_10
; %bb.11:                               ;   in Loop: Header=BB8_5 Depth=1
	s_or_b32 exec_lo, exec_lo, s11
	v_mov_b32_e32 v14, v15
	s_branch .LBB8_4
.LBB8_12:
                                        ; implicit-def: $vgpr14
	v_lshl_add_u64 v[2:3], v[2:3], 3, s[8:9]
	v_lshl_add_u64 v[4:5], v[4:5], 2, s[12:13]
	s_branch .LBB8_15
.LBB8_13:
	s_or_b32 exec_lo, exec_lo, s14
.LBB8_14:
	s_delay_alu instid0(SALU_CYCLE_1)
	s_or_b32 exec_lo, exec_lo, s3
	v_lshl_add_u64 v[2:3], v[2:3], 3, s[8:9]
	v_lshl_add_u64 v[4:5], v[4:5], 2, s[12:13]
	s_cbranch_execnz .LBB8_53
.LBB8_15:
	v_lshl_add_u64 v[6:7], v[0:1], 3, s[22:23]
	v_lshlrev_b32_e32 v18, 1, v0
	s_load_b128 s[8:11], s[0:1], 0x90
                                        ; implicit-def: $sgpr6_sgpr7
	global_load_b64 v[6:7], v[6:7], off
	v_mul_lo_u32 v14, v18, s30
	s_delay_alu instid0(VALU_DEP_1) | instskip(SKIP_2) | instid1(SALU_CYCLE_1)
	v_ashrrev_i32_e32 v15, 31, v14
	s_wait_xcnt 0x0
	s_and_saveexec_b32 s3, s2
	s_xor_b32 s2, exec_lo, s3
; %bb.16:
	s_ashr_i32 s7, s30, 31
	s_mov_b32 s6, s30
                                        ; implicit-def: $vgpr32
                                        ; implicit-def: $vgpr16_vgpr17
                                        ; implicit-def: $vgpr20_vgpr21
; %bb.17:
	s_or_saveexec_b32 s19, s2
	v_mov_b64_e32 v[22:23], s[6:7]
	v_mov_b32_e32 v12, 0
	s_wait_kmcnt 0x0
	v_lshl_add_u64 v[8:9], v[14:15], 3, s[8:9]
	v_lshl_add_u64 v[10:11], v[14:15], 2, s[10:11]
	s_xor_b32 exec_lo, exec_lo, s19
	s_cbranch_execz .LBB8_28
; %bb.18:
	v_mov_b32_e32 v12, 0
	s_ashr_i32 s3, s30, 31
	s_mov_b32 s2, s30
	s_mov_b32 s15, 0
	s_lshl_b64 s[6:7], s[2:3], 3
	s_mov_b32 s20, 0
	s_mov_b32 s14, s15
	s_branch .LBB8_20
.LBB8_19:                               ;   in Loop: Header=BB8_20 Depth=1
	s_or_b32 exec_lo, exec_lo, s16
	s_add_co_i32 s14, s14, 1
	s_delay_alu instid0(SALU_CYCLE_1) | instskip(SKIP_1) | instid1(SALU_CYCLE_1)
	v_cmp_eq_u32_e32 vcc_lo, s14, v32
	s_or_b32 s20, vcc_lo, s20
	s_and_not1_b32 exec_lo, exec_lo, s20
	s_cbranch_execz .LBB8_27
.LBB8_20:                               ; =>This Loop Header: Depth=1
                                        ;     Child Loop BB8_25 Depth 2
	s_cmp_eq_u32 s14, 0
	s_cbranch_scc1 .LBB8_22
; %bb.21:                               ;   in Loop: Header=BB8_20 Depth=1
	v_lshl_add_u64 v[22:23], s[14:15], 2, v[20:21]
	s_mov_b64 s[16:17], s[14:15]
	global_load_b32 v26, v[22:23], off offset:-4
	s_branch .LBB8_23
.LBB8_22:                               ;   in Loop: Header=BB8_20 Depth=1
	v_mov_b32_e32 v26, 0
	s_mov_b64 s[16:17], 0
.LBB8_23:                               ;   in Loop: Header=BB8_20 Depth=1
	s_wait_xcnt 0x0
	v_lshl_add_u64 v[22:23], s[16:17], 2, v[16:17]
	s_mov_b32 s16, exec_lo
	global_load_b32 v13, v[22:23], off
	s_wait_loadcnt 0x0
	v_cmpx_lt_i32_e32 0, v13
	s_cbranch_execz .LBB8_19
; %bb.24:                               ;   in Loop: Header=BB8_20 Depth=1
	v_dual_ashrrev_i32 v27, 31, v26 :: v_dual_ashrrev_i32 v13, 31, v12
	s_mov_b32 s17, 0
	s_mov_b32 s21, 0
	s_delay_alu instid0(VALU_DEP_1)
	v_lshl_add_u64 v[24:25], v[26:27], 3, v[2:3]
	v_lshl_add_u64 v[26:27], v[26:27], 2, v[4:5]
	;; [unrolled: 1-line block ×4, first 2 shown]
.LBB8_25:                               ;   Parent Loop BB8_20 Depth=1
                                        ; =>  This Inner Loop Header: Depth=2
	global_load_b32 v13, v[26:27], off
	s_add_co_i32 s21, s21, 1
	v_add_nc_u64_e32 v[36:37], s[6:7], v[28:29]
	s_wait_xcnt 0x0
	v_add_nc_u64_e32 v[26:27], 4, v[26:27]
	s_wait_loadcnt 0x0
	global_store_b32 v[30:31], v13, off
	global_load_b32 v13, v[22:23], off
	global_load_b64 v[34:35], v[24:25], off
	s_wait_xcnt 0x0
	v_add_nc_u64_e32 v[24:25], 8, v[24:25]
	v_add_nc_u64_e32 v[30:31], 4, v[30:31]
	s_wait_loadcnt 0x1
	v_cmp_ge_i32_e32 vcc_lo, s21, v13
	s_wait_loadcnt 0x0
	global_store_b64 v[28:29], v[34:35], off
	s_wait_xcnt 0x0
	v_add_nc_u64_e32 v[28:29], 8, v[28:29]
	v_add_nc_u32_e32 v13, s21, v12
	global_store_b64 v[36:37], v[34:35], off
	s_or_b32 s17, vcc_lo, s17
	s_wait_xcnt 0x0
	s_and_not1_b32 exec_lo, exec_lo, s17
	s_cbranch_execnz .LBB8_25
; %bb.26:                               ;   in Loop: Header=BB8_20 Depth=1
	s_or_b32 exec_lo, exec_lo, s17
	v_mov_b32_e32 v12, v13
	s_branch .LBB8_19
.LBB8_27:
	s_or_b32 exec_lo, exec_lo, s20
	v_mov_b64_e32 v[22:23], s[2:3]
.LBB8_28:
	s_or_b32 exec_lo, exec_lo, s19
; %bb.29:
	s_delay_alu instid0(VALU_DEP_1)
	v_lshl_add_u64 v[16:17], v[22:23], 3, v[8:9]
	s_mov_b32 s6, 1
	s_mov_b32 s3, exec_lo
	v_cmpx_lt_i32_e32 1, v12
	s_cbranch_execz .LBB8_37
; %bb.30:
	v_lshlrev_b64_e32 v[14:15], 3, v[14:15]
	s_cmp_lg_u64 s[10:11], 0
	s_delay_alu instid0(VALU_DEP_1) | instskip(NEXT) | instid1(VALU_DEP_1)
	v_lshl_add_u64 v[14:15], v[22:23], 3, v[14:15]
	v_add_nc_u64_e32 v[20:21], s[8:9], v[14:15]
	v_lshl_add_u64 v[14:15], v[22:23], 2, v[10:11]
	s_cselect_b32 s8, -1, 0
	s_mov_b32 s9, 0
	s_delay_alu instid0(VALU_DEP_2)
	v_add_nc_u64_e32 v[20:21], 8, v[20:21]
	s_branch .LBB8_32
.LBB8_31:                               ;   in Loop: Header=BB8_32 Depth=1
	s_wait_xcnt 0x0
	s_or_b32 exec_lo, exec_lo, s2
	s_add_co_i32 s6, s6, 1
	v_add_nc_u64_e32 v[20:21], 8, v[20:21]
	v_cmp_eq_u32_e32 vcc_lo, s6, v12
	s_or_b32 s9, vcc_lo, s9
	s_delay_alu instid0(SALU_CYCLE_1)
	s_and_not1_b32 exec_lo, exec_lo, s9
	s_cbranch_execz .LBB8_37
.LBB8_32:                               ; =>This Loop Header: Depth=1
                                        ;     Child Loop BB8_33 Depth 2
	s_ashr_i32 s7, s6, 31
	s_add_co_i32 s10, s6, -1
	v_lshl_add_u64 v[24:25], s[6:7], 3, v[16:17]
	s_delay_alu instid0(VALU_DEP_2)
	v_mov_b64_e32 v[30:31], v[20:21]
	v_mov_b32_e32 v22, s10
	s_mov_b32 s11, 0
	s_mov_b32 s14, s6
	global_load_b64 v[26:27], v[24:25], off offset:-8
	s_wait_loadcnt 0x0
	v_mov_b64_e32 v[28:29], v[26:27]
.LBB8_33:                               ;   Parent Loop BB8_32 Depth=1
                                        ; =>  This Inner Loop Header: Depth=2
	global_load_b64 v[32:33], v[30:31], off
	s_wait_xcnt 0x0
	v_add_nc_u64_e32 v[30:31], 8, v[30:31]
	s_wait_loadcnt 0x0
	v_cmp_lt_f64_e32 vcc_lo, v[32:33], v[28:29]
	v_cndmask_b32_e64 v22, v22, s14, vcc_lo
	s_add_co_i32 s14, s14, 1
	v_dual_cndmask_b32 v29, v29, v33 :: v_dual_cndmask_b32 v28, v28, v32
	v_cmp_eq_u32_e64 s2, s14, v12
	s_or_b32 s11, s2, s11
	s_delay_alu instid0(SALU_CYCLE_1)
	s_and_not1_b32 exec_lo, exec_lo, s11
	s_cbranch_execnz .LBB8_33
; %bb.34:                               ;   in Loop: Header=BB8_32 Depth=1
	s_or_b32 exec_lo, exec_lo, s11
	s_delay_alu instid0(SALU_CYCLE_1)
	s_mov_b32 s2, exec_lo
	v_cmpx_ne_u32_e64 s10, v22
	s_cbranch_execz .LBB8_31
; %bb.35:                               ;   in Loop: Header=BB8_32 Depth=1
	v_ashrrev_i32_e32 v23, 31, v22
	s_and_not1_b32 vcc_lo, exec_lo, s8
	s_delay_alu instid0(VALU_DEP_1)
	v_lshl_add_u64 v[30:31], v[22:23], 3, v[16:17]
	s_clause 0x1
	global_store_b64 v[30:31], v[26:27], off
	global_store_b64 v[24:25], v[28:29], off offset:-8
	s_cbranch_vccnz .LBB8_31
; %bb.36:                               ;   in Loop: Header=BB8_32 Depth=1
	s_wait_xcnt 0x0
	v_lshl_add_u64 v[24:25], s[6:7], 2, v[14:15]
	v_lshl_add_u64 v[22:23], v[22:23], 2, v[14:15]
	s_clause 0x1
	global_load_b32 v13, v[24:25], off offset:-4
	global_load_b32 v19, v[22:23], off
	s_wait_loadcnt 0x1
	global_store_b32 v[22:23], v13, off
	s_wait_loadcnt 0x0
	global_store_b32 v[24:25], v19, off offset:-4
	s_branch .LBB8_31
.LBB8_37:
	s_or_b32 exec_lo, exec_lo, s3
	v_mov_b32_e32 v14, 0
	s_mov_b32 s6, exec_lo
	v_cmpx_lt_i32_e32 0, v12
	s_cbranch_execz .LBB8_52
; %bb.38:
	s_load_b128 s[8:11], s[0:1], 0x18
	v_add_nc_u32_e32 v13, -1, v12
	s_wait_loadcnt 0x0
	v_xor_b32_e32 v36, 0x80000000, v7
	s_wait_kmcnt 0x0
	s_ashr_i32 s1, s11, 31
	s_mov_b32 s0, s11
	s_ashr_i32 s3, s10, 31
	v_mul_u64_e32 v[14:15], s[0:1], v[0:1]
	s_add_co_i32 s1, s30, -1
	s_mov_b32 s2, s10
	v_mul_lo_u32 v20, v0, s1
	s_lshl_b64 s[2:3], s[2:3], 3
	v_ashrrev_i32_e32 v19, 31, v18
	s_add_nc_u64 s[10:11], s[8:9], s[2:3]
	s_cmp_gt_i32 s30, 1
	s_cselect_b32 s7, -1, 0
	s_delay_alu instid0(VALU_DEP_2) | instskip(SKIP_1) | instid1(VALU_DEP_2)
	v_ashrrev_i32_e32 v21, 31, v20
	v_lshl_add_u64 v[18:19], v[18:19], 3, s[26:27]
	v_lshl_add_u64 v[20:21], v[20:21], 3, s[24:25]
	v_lshlrev_b64_e32 v[14:15], 3, v[14:15]
	s_delay_alu instid0(VALU_DEP_1) | instskip(SKIP_3) | instid1(VALU_DEP_3)
	v_add_nc_u64_e32 v[22:23], s[8:9], v[14:15]
	v_add_nc_u64_e32 v[24:25], s[10:11], v[14:15]
	v_mov_b32_e32 v14, 0
	s_mov_b32 s8, 0
	v_add_nc_u64_e32 v[22:23], s[2:3], v[22:23]
	s_delay_alu instid0(VALU_DEP_3) | instskip(SKIP_1) | instid1(SALU_CYCLE_1)
	v_add_nc_u64_e32 v[24:25], 8, v[24:25]
	s_mov_b32 s3, 0
	s_mov_b32 s2, s3
	s_branch .LBB8_41
.LBB8_39:                               ;   in Loop: Header=BB8_41 Depth=1
	s_wait_xcnt 0x0
	s_or_b32 exec_lo, exec_lo, s0
.LBB8_40:                               ;   in Loop: Header=BB8_41 Depth=1
	s_delay_alu instid0(SALU_CYCLE_1) | instskip(SKIP_1) | instid1(SALU_CYCLE_1)
	s_or_b32 exec_lo, exec_lo, s9
	s_add_co_i32 s2, s2, 1
	v_cmp_eq_u32_e32 vcc_lo, s2, v12
	s_or_b32 s8, vcc_lo, s8
	s_delay_alu instid0(SALU_CYCLE_1)
	s_and_not1_b32 exec_lo, exec_lo, s8
	s_cbranch_execz .LBB8_51
.LBB8_41:                               ; =>This Loop Header: Depth=1
                                        ;     Child Loop BB8_43 Depth 2
                                        ;     Child Loop BB8_48 Depth 2
	v_lshl_add_u64 v[26:27], s[2:3], 3, v[8:9]
	v_mov_b64_e32 v[32:33], v[16:17]
	s_mov_b32 s0, s3
	s_mov_b32 s14, s3
                                        ; implicit-def: $sgpr9
                                        ; implicit-def: $sgpr11
                                        ; implicit-def: $sgpr10
	global_load_b64 v[26:27], v[26:27], off
	s_branch .LBB8_43
.LBB8_42:                               ;   in Loop: Header=BB8_43 Depth=2
	s_or_b32 exec_lo, exec_lo, s16
	s_delay_alu instid0(SALU_CYCLE_1) | instskip(SKIP_4) | instid1(SALU_CYCLE_1)
	s_and_b32 s16, exec_lo, s11
	v_mov_b32_e32 v15, s14
	s_or_b32 s0, s16, s0
	s_and_not1_b32 s9, s9, exec_lo
	s_and_b32 s14, s10, exec_lo
	s_or_b32 s9, s9, s14
	s_mov_b32 s14, s15
	s_and_not1_b32 exec_lo, exec_lo, s0
	s_cbranch_execz .LBB8_45
.LBB8_43:                               ;   Parent Loop BB8_41 Depth=1
                                        ; =>  This Inner Loop Header: Depth=2
	global_load_b64 v[28:29], v[32:33], off
	v_mov_b64_e32 v[30:31], v[32:33]
	s_or_b32 s10, s10, exec_lo
	s_or_b32 s11, s11, exec_lo
	s_mov_b32 s16, exec_lo
                                        ; implicit-def: $sgpr15
                                        ; implicit-def: $vgpr32_vgpr33
	s_wait_loadcnt 0x0
	v_cmpx_neq_f64_e32 v[26:27], v[28:29]
	s_cbranch_execz .LBB8_42
; %bb.44:                               ;   in Loop: Header=BB8_43 Depth=2
	s_add_co_i32 s15, s14, 1
	v_add_nc_u64_e32 v[32:33], 8, v[30:31]
	v_cmp_eq_u32_e32 vcc_lo, s15, v12
	s_and_not1_b32 s11, s11, exec_lo
	s_and_not1_b32 s10, s10, exec_lo
	s_and_b32 s17, vcc_lo, exec_lo
	s_delay_alu instid0(SALU_CYCLE_1)
	s_or_b32 s11, s11, s17
	s_branch .LBB8_42
.LBB8_45:                               ;   in Loop: Header=BB8_41 Depth=1
	s_or_b32 exec_lo, exec_lo, s0
	s_and_saveexec_b32 s0, s9
	s_delay_alu instid0(SALU_CYCLE_1)
	s_xor_b32 s9, exec_lo, s0
	s_cbranch_execz .LBB8_40
; %bb.46:                               ;   in Loop: Header=BB8_41 Depth=1
	v_cmp_eq_u32_e32 vcc_lo, v15, v13
	v_dual_cndmask_b32 v31, v31, v19 :: v_dual_cndmask_b32 v30, v30, v18
	s_and_not1_b32 vcc_lo, exec_lo, s7
	global_load_b64 v[32:33], v[30:31], off offset:8
	global_load_b64 v[34:35], v[22:23], off
	s_wait_loadcnt 0x1
	v_add_f64_e64 v[28:29], v[32:33], -v[28:29]
	s_delay_alu instid0(VALU_DEP_1) | instskip(SKIP_1) | instid1(VALU_DEP_1)
	v_fma_f64 v[28:29], 0.5, v[28:29], v[26:27]
	s_wait_loadcnt 0x0
	v_add_f64_e64 v[32:33], v[34:35], -v[28:29]
	s_delay_alu instid0(VALU_DEP_1) | instskip(NEXT) | instid1(VALU_DEP_1)
	v_cmp_le_f64_e64 s0, v[32:33], v[6:7]
	v_cndmask_b32_e64 v15, 0, 1, s0
	s_cbranch_vccnz .LBB8_49
; %bb.47:                               ;   in Loop: Header=BB8_41 Depth=1
	v_cmp_gt_f64_e64 s10, v[32:33], -v[6:7]
	s_wait_xcnt 0x1
	v_mov_b64_e32 v[30:31], v[20:21]
	s_and_b32 vcc_lo, s0, s10
	s_mov_b32 s0, s1
	v_dual_cndmask_b32 v35, v33, v36 :: v_dual_cndmask_b32 v34, v32, v6
	v_mov_b64_e32 v[32:33], v[24:25]
.LBB8_48:                               ;   Parent Loop BB8_41 Depth=1
                                        ; =>  This Inner Loop Header: Depth=2
	global_load_b64 v[38:39], v[30:31], off
	global_load_b64 v[40:41], v[32:33], off
	s_wait_xcnt 0x0
	v_add_nc_u64_e32 v[32:33], 8, v[32:33]
	v_add_nc_u64_e32 v[30:31], 8, v[30:31]
	s_add_co_i32 s0, s0, -1
	s_wait_loadcnt 0x1
	v_div_scale_f64 v[42:43], null, v[34:35], v[34:35], v[38:39]
	v_div_scale_f64 v[48:49], vcc_lo, v[38:39], v[34:35], v[38:39]
	s_wait_loadcnt 0x0
	v_add_f64_e64 v[40:41], v[40:41], -v[28:29]
	s_delay_alu instid0(VALU_DEP_3) | instskip(SKIP_1) | instid1(TRANS32_DEP_1)
	v_rcp_f64_e32 v[44:45], v[42:43]
	v_nop
	v_fma_f64 v[46:47], -v[42:43], v[44:45], 1.0
	s_delay_alu instid0(VALU_DEP_1) | instskip(NEXT) | instid1(VALU_DEP_1)
	v_fmac_f64_e32 v[44:45], v[44:45], v[46:47]
	v_fma_f64 v[46:47], -v[42:43], v[44:45], 1.0
	s_delay_alu instid0(VALU_DEP_1) | instskip(NEXT) | instid1(VALU_DEP_1)
	v_fmac_f64_e32 v[44:45], v[44:45], v[46:47]
	v_mul_f64_e32 v[46:47], v[48:49], v[44:45]
	s_delay_alu instid0(VALU_DEP_1) | instskip(NEXT) | instid1(VALU_DEP_1)
	v_fma_f64 v[42:43], -v[42:43], v[46:47], v[48:49]
	v_div_fmas_f64 v[42:43], v[42:43], v[44:45], v[46:47]
	s_delay_alu instid0(VALU_DEP_1) | instskip(NEXT) | instid1(VALU_DEP_1)
	v_div_fixup_f64 v[34:35], v[42:43], v[34:35], v[38:39]
	v_add_f64_e64 v[34:35], v[40:41], -v[34:35]
	s_delay_alu instid0(VALU_DEP_1)
	v_cmp_le_f64_e32 vcc_lo, v[34:35], v[6:7]
	v_cmp_gt_f64_e64 s10, v[34:35], -v[6:7]
	v_add_co_ci_u32_e64 v15, null, 0, v15, vcc_lo
	s_and_b32 vcc_lo, vcc_lo, s10
	s_cmp_lg_u32 s0, 0
	v_dual_cndmask_b32 v35, v35, v36 :: v_dual_cndmask_b32 v34, v34, v6
	s_cbranch_scc1 .LBB8_48
.LBB8_49:                               ;   in Loop: Header=BB8_41 Depth=1
	s_delay_alu instid0(VALU_DEP_1)
	v_cmp_le_i32_e32 vcc_lo, s31, v15
	v_cmp_ge_i32_e64 s0, s18, v15
	s_and_b32 s10, vcc_lo, s0
	s_wait_xcnt 0x0
	s_and_saveexec_b32 s0, s10
	s_cbranch_execz .LBB8_39
; %bb.50:                               ;   in Loop: Header=BB8_41 Depth=1
	v_lshl_add_u64 v[28:29], s[2:3], 2, v[10:11]
	v_ashrrev_i32_e32 v15, 31, v14
	global_load_b32 v32, v[28:29], off
	s_wait_xcnt 0x0
	v_lshl_add_u64 v[28:29], v[14:15], 3, v[2:3]
	v_lshl_add_u64 v[30:31], v[14:15], 2, v[4:5]
	v_add_nc_u32_e32 v14, 1, v14
	global_store_b64 v[28:29], v[26:27], off
	s_wait_loadcnt 0x0
	global_store_b32 v[30:31], v32, off
	s_branch .LBB8_39
.LBB8_51:
	s_or_b32 exec_lo, exec_lo, s8
.LBB8_52:
	s_delay_alu instid0(SALU_CYCLE_1)
	s_or_b32 exec_lo, exec_lo, s6
.LBB8_53:
	v_cmp_lt_i32_e32 vcc_lo, 1, v14
	s_cmp_eq_u32 s29, 0xf2
	v_lshl_add_u64 v[0:1], v[0:1], 2, s[4:5]
	s_cselect_b32 s0, -1, 0
	s_mov_b32 s2, 1
	s_and_b32 s0, s0, vcc_lo
	global_store_b32 v[0:1], v14, off
	s_wait_xcnt 0x0
	s_and_b32 exec_lo, exec_lo, s0
	s_cbranch_execz .LBB8_61
; %bb.54:
	v_add_nc_u64_e32 v[0:1], 8, v[2:3]
	s_cmp_lg_u64 s[12:13], 0
	s_mov_b32 s4, 0
	s_cselect_b32 s1, -1, 0
	s_branch .LBB8_56
.LBB8_55:                               ;   in Loop: Header=BB8_56 Depth=1
	s_wait_xcnt 0x0
	s_or_b32 exec_lo, exec_lo, s0
	s_add_co_i32 s2, s2, 1
	v_add_nc_u64_e32 v[0:1], 8, v[0:1]
	v_cmp_eq_u32_e32 vcc_lo, s2, v14
	s_or_b32 s4, vcc_lo, s4
	s_delay_alu instid0(SALU_CYCLE_1)
	s_and_not1_b32 exec_lo, exec_lo, s4
	s_cbranch_execz .LBB8_61
.LBB8_56:                               ; =>This Loop Header: Depth=1
                                        ;     Child Loop BB8_57 Depth 2
	s_ashr_i32 s3, s2, 31
	s_add_co_i32 s5, s2, -1
	v_lshl_add_u64 v[8:9], s[2:3], 3, v[2:3]
	v_mov_b64_e32 v[16:17], v[0:1]
	s_wait_loadcnt 0x0
	v_mov_b32_e32 v6, s5
	s_mov_b32 s6, 0
	s_mov_b32 s7, s2
	global_load_b64 v[10:11], v[8:9], off offset:-8
	s_wait_loadcnt 0x0
	v_mov_b64_e32 v[12:13], v[10:11]
.LBB8_57:                               ;   Parent Loop BB8_56 Depth=1
                                        ; =>  This Inner Loop Header: Depth=2
	global_load_b64 v[18:19], v[16:17], off
	s_wait_xcnt 0x0
	v_add_nc_u64_e32 v[16:17], 8, v[16:17]
	s_wait_loadcnt 0x0
	v_cmp_lt_f64_e32 vcc_lo, v[18:19], v[12:13]
	v_cndmask_b32_e64 v6, v6, s7, vcc_lo
	s_add_co_i32 s7, s7, 1
	v_dual_cndmask_b32 v13, v13, v19 :: v_dual_cndmask_b32 v12, v12, v18
	v_cmp_eq_u32_e64 s0, s7, v14
	s_or_b32 s6, s0, s6
	s_delay_alu instid0(SALU_CYCLE_1)
	s_and_not1_b32 exec_lo, exec_lo, s6
	s_cbranch_execnz .LBB8_57
; %bb.58:                               ;   in Loop: Header=BB8_56 Depth=1
	s_or_b32 exec_lo, exec_lo, s6
	s_delay_alu instid0(SALU_CYCLE_1)
	s_mov_b32 s0, exec_lo
	v_cmpx_ne_u32_e64 s5, v6
	s_cbranch_execz .LBB8_55
; %bb.59:                               ;   in Loop: Header=BB8_56 Depth=1
	v_ashrrev_i32_e32 v7, 31, v6
	s_and_not1_b32 vcc_lo, exec_lo, s1
	s_delay_alu instid0(VALU_DEP_1)
	v_lshl_add_u64 v[16:17], v[6:7], 3, v[2:3]
	s_clause 0x1
	global_store_b64 v[16:17], v[10:11], off
	global_store_b64 v[8:9], v[12:13], off offset:-8
	s_cbranch_vccnz .LBB8_55
; %bb.60:                               ;   in Loop: Header=BB8_56 Depth=1
	s_wait_xcnt 0x0
	v_lshl_add_u64 v[8:9], s[2:3], 2, v[4:5]
	v_lshl_add_u64 v[6:7], v[6:7], 2, v[4:5]
	s_clause 0x1
	global_load_b32 v10, v[8:9], off offset:-4
	global_load_b32 v11, v[6:7], off
	s_wait_loadcnt 0x1
	global_store_b32 v[6:7], v10, off
	s_wait_loadcnt 0x0
	global_store_b32 v[8:9], v11, off offset:-4
	s_branch .LBB8_55
.LBB8_61:
	s_endpgm
	.section	.rodata,"a",@progbits
	.p2align	6, 0x0
	.amdhsa_kernel _ZN9rocsolver6v33100L22stebz_synthesis_kernelIdPdEEv15rocblas_erange_15rocblas_eorder_iiiT0_iiPiS6_PT_lS6_lS6_liS6_S8_S8_S8_S8_S6_S7_
		.amdhsa_group_segment_fixed_size 0
		.amdhsa_private_segment_fixed_size 0
		.amdhsa_kernarg_size 424
		.amdhsa_user_sgpr_count 2
		.amdhsa_user_sgpr_dispatch_ptr 0
		.amdhsa_user_sgpr_queue_ptr 0
		.amdhsa_user_sgpr_kernarg_segment_ptr 1
		.amdhsa_user_sgpr_dispatch_id 0
		.amdhsa_user_sgpr_kernarg_preload_length 0
		.amdhsa_user_sgpr_kernarg_preload_offset 0
		.amdhsa_user_sgpr_private_segment_size 0
		.amdhsa_wavefront_size32 1
		.amdhsa_uses_dynamic_stack 0
		.amdhsa_enable_private_segment 0
		.amdhsa_system_sgpr_workgroup_id_x 1
		.amdhsa_system_sgpr_workgroup_id_y 0
		.amdhsa_system_sgpr_workgroup_id_z 0
		.amdhsa_system_sgpr_workgroup_info 0
		.amdhsa_system_vgpr_workitem_id 0
		.amdhsa_next_free_vgpr 50
		.amdhsa_next_free_sgpr 32
		.amdhsa_named_barrier_count 0
		.amdhsa_reserve_vcc 1
		.amdhsa_float_round_mode_32 0
		.amdhsa_float_round_mode_16_64 0
		.amdhsa_float_denorm_mode_32 3
		.amdhsa_float_denorm_mode_16_64 3
		.amdhsa_fp16_overflow 0
		.amdhsa_memory_ordered 1
		.amdhsa_forward_progress 1
		.amdhsa_inst_pref_size 22
		.amdhsa_round_robin_scheduling 0
		.amdhsa_exception_fp_ieee_invalid_op 0
		.amdhsa_exception_fp_denorm_src 0
		.amdhsa_exception_fp_ieee_div_zero 0
		.amdhsa_exception_fp_ieee_overflow 0
		.amdhsa_exception_fp_ieee_underflow 0
		.amdhsa_exception_fp_ieee_inexact 0
		.amdhsa_exception_int_div_zero 0
	.end_amdhsa_kernel
	.section	.text._ZN9rocsolver6v33100L22stebz_synthesis_kernelIdPdEEv15rocblas_erange_15rocblas_eorder_iiiT0_iiPiS6_PT_lS6_lS6_liS6_S8_S8_S8_S8_S6_S7_,"axG",@progbits,_ZN9rocsolver6v33100L22stebz_synthesis_kernelIdPdEEv15rocblas_erange_15rocblas_eorder_iiiT0_iiPiS6_PT_lS6_lS6_liS6_S8_S8_S8_S8_S6_S7_,comdat
.Lfunc_end8:
	.size	_ZN9rocsolver6v33100L22stebz_synthesis_kernelIdPdEEv15rocblas_erange_15rocblas_eorder_iiiT0_iiPiS6_PT_lS6_lS6_liS6_S8_S8_S8_S8_S6_S7_, .Lfunc_end8-_ZN9rocsolver6v33100L22stebz_synthesis_kernelIdPdEEv15rocblas_erange_15rocblas_eorder_iiiT0_iiPiS6_PT_lS6_lS6_liS6_S8_S8_S8_S8_S6_S7_
                                        ; -- End function
	.set _ZN9rocsolver6v33100L22stebz_synthesis_kernelIdPdEEv15rocblas_erange_15rocblas_eorder_iiiT0_iiPiS6_PT_lS6_lS6_liS6_S8_S8_S8_S8_S6_S7_.num_vgpr, 50
	.set _ZN9rocsolver6v33100L22stebz_synthesis_kernelIdPdEEv15rocblas_erange_15rocblas_eorder_iiiT0_iiPiS6_PT_lS6_lS6_liS6_S8_S8_S8_S8_S6_S7_.num_agpr, 0
	.set _ZN9rocsolver6v33100L22stebz_synthesis_kernelIdPdEEv15rocblas_erange_15rocblas_eorder_iiiT0_iiPiS6_PT_lS6_lS6_liS6_S8_S8_S8_S8_S6_S7_.numbered_sgpr, 32
	.set _ZN9rocsolver6v33100L22stebz_synthesis_kernelIdPdEEv15rocblas_erange_15rocblas_eorder_iiiT0_iiPiS6_PT_lS6_lS6_liS6_S8_S8_S8_S8_S6_S7_.num_named_barrier, 0
	.set _ZN9rocsolver6v33100L22stebz_synthesis_kernelIdPdEEv15rocblas_erange_15rocblas_eorder_iiiT0_iiPiS6_PT_lS6_lS6_liS6_S8_S8_S8_S8_S6_S7_.private_seg_size, 0
	.set _ZN9rocsolver6v33100L22stebz_synthesis_kernelIdPdEEv15rocblas_erange_15rocblas_eorder_iiiT0_iiPiS6_PT_lS6_lS6_liS6_S8_S8_S8_S8_S6_S7_.uses_vcc, 1
	.set _ZN9rocsolver6v33100L22stebz_synthesis_kernelIdPdEEv15rocblas_erange_15rocblas_eorder_iiiT0_iiPiS6_PT_lS6_lS6_liS6_S8_S8_S8_S8_S6_S7_.uses_flat_scratch, 0
	.set _ZN9rocsolver6v33100L22stebz_synthesis_kernelIdPdEEv15rocblas_erange_15rocblas_eorder_iiiT0_iiPiS6_PT_lS6_lS6_liS6_S8_S8_S8_S8_S6_S7_.has_dyn_sized_stack, 0
	.set _ZN9rocsolver6v33100L22stebz_synthesis_kernelIdPdEEv15rocblas_erange_15rocblas_eorder_iiiT0_iiPiS6_PT_lS6_lS6_liS6_S8_S8_S8_S8_S6_S7_.has_recursion, 0
	.set _ZN9rocsolver6v33100L22stebz_synthesis_kernelIdPdEEv15rocblas_erange_15rocblas_eorder_iiiT0_iiPiS6_PT_lS6_lS6_liS6_S8_S8_S8_S8_S6_S7_.has_indirect_call, 0
	.section	.AMDGPU.csdata,"",@progbits
; Kernel info:
; codeLenInByte = 2776
; TotalNumSgprs: 34
; NumVgprs: 50
; ScratchSize: 0
; MemoryBound: 0
; FloatMode: 240
; IeeeMode: 1
; LDSByteSize: 0 bytes/workgroup (compile time only)
; SGPRBlocks: 0
; VGPRBlocks: 3
; NumSGPRsForWavesPerEU: 34
; NumVGPRsForWavesPerEU: 50
; NamedBarCnt: 0
; Occupancy: 16
; WaveLimiterHint : 1
; COMPUTE_PGM_RSRC2:SCRATCH_EN: 0
; COMPUTE_PGM_RSRC2:USER_SGPR: 2
; COMPUTE_PGM_RSRC2:TRAP_HANDLER: 0
; COMPUTE_PGM_RSRC2:TGID_X_EN: 1
; COMPUTE_PGM_RSRC2:TGID_Y_EN: 0
; COMPUTE_PGM_RSRC2:TGID_Z_EN: 0
; COMPUTE_PGM_RSRC2:TIDIG_COMP_CNT: 0
	.section	.AMDGPU.gpr_maximums,"",@progbits
	.set amdgpu.max_num_vgpr, 0
	.set amdgpu.max_num_agpr, 0
	.set amdgpu.max_num_sgpr, 0
	.section	.AMDGPU.csdata,"",@progbits
	.type	__hip_cuid_a70946805d5e33b9,@object ; @__hip_cuid_a70946805d5e33b9
	.section	.bss,"aw",@nobits
	.globl	__hip_cuid_a70946805d5e33b9
__hip_cuid_a70946805d5e33b9:
	.byte	0                               ; 0x0
	.size	__hip_cuid_a70946805d5e33b9, 1

	.ident	"AMD clang version 22.0.0git (https://github.com/RadeonOpenCompute/llvm-project roc-7.2.4 26084 f58b06dce1f9c15707c5f808fd002e18c2accf7e)"
	.section	".note.GNU-stack","",@progbits
	.addrsig
	.addrsig_sym __hip_cuid_a70946805d5e33b9
	.amdgpu_metadata
---
amdhsa.kernels:
  - .args:
      - .address_space:  global
        .offset:         0
        .size:           8
        .value_kind:     global_buffer
      - .offset:         8
        .size:           4
        .value_kind:     by_value
      - .offset:         12
        .size:           4
        .value_kind:     by_value
      - .offset:         16
        .size:           4
        .value_kind:     by_value
      - .offset:         24
        .size:           4
        .value_kind:     hidden_block_count_x
      - .offset:         28
        .size:           4
        .value_kind:     hidden_block_count_y
      - .offset:         32
        .size:           4
        .value_kind:     hidden_block_count_z
      - .offset:         36
        .size:           2
        .value_kind:     hidden_group_size_x
      - .offset:         38
        .size:           2
        .value_kind:     hidden_group_size_y
      - .offset:         40
        .size:           2
        .value_kind:     hidden_group_size_z
      - .offset:         42
        .size:           2
        .value_kind:     hidden_remainder_x
      - .offset:         44
        .size:           2
        .value_kind:     hidden_remainder_y
      - .offset:         46
        .size:           2
        .value_kind:     hidden_remainder_z
      - .offset:         64
        .size:           8
        .value_kind:     hidden_global_offset_x
      - .offset:         72
        .size:           8
        .value_kind:     hidden_global_offset_y
      - .offset:         80
        .size:           8
        .value_kind:     hidden_global_offset_z
      - .offset:         88
        .size:           2
        .value_kind:     hidden_grid_dims
    .group_segment_fixed_size: 0
    .kernarg_segment_align: 8
    .kernarg_segment_size: 280
    .language:       OpenCL C
    .language_version:
      - 2
      - 0
    .max_flat_workgroup_size: 1024
    .name:           _ZN9rocsolver6v33100L10reset_infoIiiiEEvPT_T0_T1_S4_
    .private_segment_fixed_size: 0
    .sgpr_count:     9
    .sgpr_spill_count: 0
    .symbol:         _ZN9rocsolver6v33100L10reset_infoIiiiEEvPT_T0_T1_S4_.kd
    .uniform_work_group_size: 1
    .uses_dynamic_stack: false
    .vgpr_count:     2
    .vgpr_spill_count: 0
    .wavefront_size: 32
  - .args:
      - .offset:         0
        .size:           4
        .value_kind:     by_value
      - .offset:         4
        .size:           4
        .value_kind:     by_value
      - .offset:         8
        .size:           4
        .value_kind:     by_value
      - .address_space:  global
        .offset:         16
        .size:           8
        .value_kind:     global_buffer
      - .offset:         24
        .size:           4
        .value_kind:     by_value
      - .offset:         32
        .size:           8
        .value_kind:     by_value
      - .address_space:  global
        .offset:         40
        .size:           8
        .value_kind:     global_buffer
      - .address_space:  global
        .offset:         48
        .size:           8
        .value_kind:     global_buffer
      - .address_space:  global
        .offset:         56
        .size:           8
        .value_kind:     global_buffer
      - .offset:         64
        .size:           8
        .value_kind:     by_value
      - .address_space:  global
        .offset:         72
        .size:           8
        .value_kind:     global_buffer
      - .offset:         80
        .size:           8
        .value_kind:     by_value
      - .address_space:  global
        .offset:         88
        .size:           8
        .value_kind:     global_buffer
      - .offset:         96
        .size:           8
        .value_kind:     by_value
      - .offset:         104
        .size:           4
        .value_kind:     by_value
      - .offset:         112
        .size:           4
        .value_kind:     hidden_block_count_x
      - .offset:         116
        .size:           4
        .value_kind:     hidden_block_count_y
      - .offset:         120
        .size:           4
        .value_kind:     hidden_block_count_z
      - .offset:         124
        .size:           2
        .value_kind:     hidden_group_size_x
      - .offset:         126
        .size:           2
        .value_kind:     hidden_group_size_y
      - .offset:         128
        .size:           2
        .value_kind:     hidden_group_size_z
      - .offset:         130
        .size:           2
        .value_kind:     hidden_remainder_x
      - .offset:         132
        .size:           2
        .value_kind:     hidden_remainder_y
      - .offset:         134
        .size:           2
        .value_kind:     hidden_remainder_z
      - .offset:         152
        .size:           8
        .value_kind:     hidden_global_offset_x
      - .offset:         160
        .size:           8
        .value_kind:     hidden_global_offset_y
      - .offset:         168
        .size:           8
        .value_kind:     hidden_global_offset_z
      - .offset:         176
        .size:           2
        .value_kind:     hidden_grid_dims
    .group_segment_fixed_size: 0
    .kernarg_segment_align: 8
    .kernarg_segment_size: 368
    .language:       OpenCL C
    .language_version:
      - 2
      - 0
    .max_flat_workgroup_size: 1024
    .name:           _ZN9rocsolver6v33100L18stebz_case1_kernelIfPfEEv15rocblas_erange_T_S4_T0_ilPiS6_PS4_lS6_lS6_li
    .private_segment_fixed_size: 0
    .sgpr_count:     25
    .sgpr_spill_count: 0
    .symbol:         _ZN9rocsolver6v33100L18stebz_case1_kernelIfPfEEv15rocblas_erange_T_S4_T0_ilPiS6_PS4_lS6_lS6_li.kd
    .uniform_work_group_size: 1
    .uses_dynamic_stack: false
    .vgpr_count:     8
    .vgpr_spill_count: 0
    .wavefront_size: 32
  - .args:
      - .offset:         0
        .size:           4
        .value_kind:     by_value
      - .offset:         4
        .size:           4
        .value_kind:     by_value
      - .offset:         8
        .size:           4
        .value_kind:     by_value
      - .offset:         12
        .size:           4
        .value_kind:     by_value
      - .offset:         16
        .size:           4
        .value_kind:     by_value
      - .offset:         20
        .size:           4
        .value_kind:     by_value
      - .address_space:  global
        .offset:         24
        .size:           8
        .value_kind:     global_buffer
      - .offset:         32
        .size:           4
        .value_kind:     by_value
      - .offset:         36
        .size:           4
        .value_kind:     by_value
      - .address_space:  global
        .offset:         40
        .size:           8
        .value_kind:     global_buffer
      - .offset:         48
        .size:           4
        .value_kind:     by_value
      - .offset:         52
        .size:           4
        .value_kind:     by_value
      - .address_space:  global
        .offset:         56
        .size:           8
        .value_kind:     global_buffer
      - .address_space:  global
        .offset:         64
        .size:           8
        .value_kind:     global_buffer
      - .offset:         72
        .size:           8
        .value_kind:     by_value
      - .address_space:  global
        .offset:         80
        .size:           8
        .value_kind:     global_buffer
      - .offset:         88
        .size:           8
        .value_kind:     by_value
      - .address_space:  global
        .offset:         96
        .size:           8
        .value_kind:     global_buffer
      - .address_space:  global
        .offset:         104
        .size:           8
        .value_kind:     global_buffer
      - .address_space:  global
        .offset:         112
        .size:           8
        .value_kind:     global_buffer
      - .address_space:  global
        .offset:         120
        .size:           8
        .value_kind:     global_buffer
      - .address_space:  global
        .offset:         128
        .size:           8
        .value_kind:     global_buffer
      - .address_space:  global
        .offset:         136
        .size:           8
        .value_kind:     global_buffer
      - .offset:         144
        .size:           4
        .value_kind:     by_value
      - .offset:         148
        .size:           4
        .value_kind:     by_value
    .group_segment_fixed_size: 2048
    .kernarg_segment_align: 8
    .kernarg_segment_size: 152
    .language:       OpenCL C
    .language_version:
      - 2
      - 0
    .max_flat_workgroup_size: 256
    .name:           _ZN9rocsolver6v33100L22stebz_splitting_kernelIfPfEEv15rocblas_erange_iT_S4_iiT0_iiS5_iiPiPS4_lS6_lS6_S7_S7_S7_S7_S6_S4_S4_
    .private_segment_fixed_size: 0
    .sgpr_count:     56
    .sgpr_spill_count: 0
    .symbol:         _ZN9rocsolver6v33100L22stebz_splitting_kernelIfPfEEv15rocblas_erange_iT_S4_iiT0_iiS5_iiPiPS4_lS6_lS6_S7_S7_S7_S7_S6_S4_S4_.kd
    .uniform_work_group_size: 1
    .uses_dynamic_stack: false
    .vgpr_count:     32
    .vgpr_spill_count: 0
    .wavefront_size: 32
  - .args:
      - .offset:         0
        .size:           4
        .value_kind:     by_value
      - .offset:         4
        .size:           4
        .value_kind:     by_value
      - .offset:         8
        .size:           4
        .value_kind:     by_value
      - .address_space:  global
        .offset:         16
        .size:           8
        .value_kind:     global_buffer
      - .offset:         24
        .size:           4
        .value_kind:     by_value
      - .offset:         28
        .size:           4
        .value_kind:     by_value
      - .address_space:  global
        .offset:         32
        .size:           8
        .value_kind:     global_buffer
      - .offset:         40
        .size:           4
        .value_kind:     by_value
      - .offset:         44
        .size:           4
        .value_kind:     by_value
      - .address_space:  global
        .offset:         48
        .size:           8
        .value_kind:     global_buffer
      - .address_space:  global
        .offset:         56
        .size:           8
        .value_kind:     global_buffer
      - .offset:         64
        .size:           8
        .value_kind:     by_value
      - .address_space:  global
        .offset:         72
        .size:           8
        .value_kind:     global_buffer
      - .offset:         80
        .size:           8
        .value_kind:     by_value
      - .address_space:  global
        .offset:         88
        .size:           8
        .value_kind:     global_buffer
      - .offset:         96
        .size:           8
        .value_kind:     by_value
      - .address_space:  global
        .offset:         104
        .size:           8
        .value_kind:     global_buffer
      - .address_space:  global
        .offset:         112
        .size:           8
        .value_kind:     global_buffer
      - .address_space:  global
        .offset:         120
        .size:           8
        .value_kind:     global_buffer
      - .address_space:  global
        .offset:         128
        .size:           8
        .value_kind:     global_buffer
      - .address_space:  global
        .offset:         136
        .size:           8
        .value_kind:     global_buffer
      - .address_space:  global
        .offset:         144
        .size:           8
        .value_kind:     global_buffer
      - .address_space:  global
        .offset:         152
        .size:           8
        .value_kind:     global_buffer
      - .offset:         160
        .size:           4
        .value_kind:     by_value
      - .offset:         164
        .size:           4
        .value_kind:     by_value
    .group_segment_fixed_size: 4616
    .kernarg_segment_align: 8
    .kernarg_segment_size: 168
    .language:       OpenCL C
    .language_version:
      - 2
      - 0
    .max_flat_workgroup_size: 128
    .name:           _ZN9rocsolver6v33100L22stebz_bisection_kernelIfPfEEv15rocblas_erange_iT_T0_iiS5_iiPiPS4_lS6_lS6_lS6_S6_S7_S7_S7_S7_S6_S4_S4_
    .private_segment_fixed_size: 0
    .sgpr_count:     79
    .sgpr_spill_count: 0
    .symbol:         _ZN9rocsolver6v33100L22stebz_bisection_kernelIfPfEEv15rocblas_erange_iT_T0_iiS5_iiPiPS4_lS6_lS6_lS6_S6_S7_S7_S7_S7_S6_S4_S4_.kd
    .uniform_work_group_size: 1
    .uses_dynamic_stack: false
    .vgpr_count:     22
    .vgpr_spill_count: 0
    .wavefront_size: 32
  - .args:
      - .offset:         0
        .size:           4
        .value_kind:     by_value
      - .offset:         4
        .size:           4
        .value_kind:     by_value
      - .offset:         8
        .size:           4
        .value_kind:     by_value
      - .offset:         12
        .size:           4
        .value_kind:     by_value
      - .offset:         16
        .size:           4
        .value_kind:     by_value
      - .address_space:  global
        .offset:         24
        .size:           8
        .value_kind:     global_buffer
      - .offset:         32
        .size:           4
        .value_kind:     by_value
      - .offset:         36
        .size:           4
        .value_kind:     by_value
      - .address_space:  global
        .offset:         40
        .size:           8
        .value_kind:     global_buffer
      - .address_space:  global
        .offset:         48
        .size:           8
        .value_kind:     global_buffer
      - .address_space:  global
        .offset:         56
        .size:           8
        .value_kind:     global_buffer
      - .offset:         64
        .size:           8
        .value_kind:     by_value
      - .address_space:  global
        .offset:         72
        .size:           8
        .value_kind:     global_buffer
      - .offset:         80
        .size:           8
        .value_kind:     by_value
      - .address_space:  global
        .offset:         88
        .size:           8
        .value_kind:     global_buffer
      - .offset:         96
        .size:           8
        .value_kind:     by_value
      - .offset:         104
        .size:           4
        .value_kind:     by_value
      - .address_space:  global
        .offset:         112
        .size:           8
        .value_kind:     global_buffer
      - .address_space:  global
        .offset:         120
        .size:           8
        .value_kind:     global_buffer
      - .address_space:  global
        .offset:         128
        .size:           8
        .value_kind:     global_buffer
      - .address_space:  global
        .offset:         136
        .size:           8
        .value_kind:     global_buffer
      - .address_space:  global
        .offset:         144
        .size:           8
        .value_kind:     global_buffer
      - .address_space:  global
        .offset:         152
        .size:           8
        .value_kind:     global_buffer
      - .offset:         160
        .size:           4
        .value_kind:     by_value
      - .offset:         168
        .size:           4
        .value_kind:     hidden_block_count_x
      - .offset:         172
        .size:           4
        .value_kind:     hidden_block_count_y
      - .offset:         176
        .size:           4
        .value_kind:     hidden_block_count_z
      - .offset:         180
        .size:           2
        .value_kind:     hidden_group_size_x
      - .offset:         182
        .size:           2
        .value_kind:     hidden_group_size_y
      - .offset:         184
        .size:           2
        .value_kind:     hidden_group_size_z
      - .offset:         186
        .size:           2
        .value_kind:     hidden_remainder_x
      - .offset:         188
        .size:           2
        .value_kind:     hidden_remainder_y
      - .offset:         190
        .size:           2
        .value_kind:     hidden_remainder_z
      - .offset:         208
        .size:           8
        .value_kind:     hidden_global_offset_x
      - .offset:         216
        .size:           8
        .value_kind:     hidden_global_offset_y
      - .offset:         224
        .size:           8
        .value_kind:     hidden_global_offset_z
      - .offset:         232
        .size:           2
        .value_kind:     hidden_grid_dims
    .group_segment_fixed_size: 0
    .kernarg_segment_align: 8
    .kernarg_segment_size: 424
    .language:       OpenCL C
    .language_version:
      - 2
      - 0
    .max_flat_workgroup_size: 1024
    .name:           _ZN9rocsolver6v33100L22stebz_synthesis_kernelIfPfEEv15rocblas_erange_15rocblas_eorder_iiiT0_iiPiS6_PT_lS6_lS6_liS6_S8_S8_S8_S8_S6_S7_
    .private_segment_fixed_size: 0
    .sgpr_count:     36
    .sgpr_spill_count: 0
    .symbol:         _ZN9rocsolver6v33100L22stebz_synthesis_kernelIfPfEEv15rocblas_erange_15rocblas_eorder_iiiT0_iiPiS6_PT_lS6_lS6_liS6_S8_S8_S8_S8_S6_S7_.kd
    .uniform_work_group_size: 1
    .uses_dynamic_stack: false
    .vgpr_count:     42
    .vgpr_spill_count: 0
    .wavefront_size: 32
  - .args:
      - .offset:         0
        .size:           4
        .value_kind:     by_value
      - .offset:         8
        .size:           8
        .value_kind:     by_value
      - .offset:         16
        .size:           8
        .value_kind:     by_value
      - .address_space:  global
        .offset:         24
        .size:           8
        .value_kind:     global_buffer
      - .offset:         32
        .size:           4
        .value_kind:     by_value
      - .offset:         40
        .size:           8
        .value_kind:     by_value
      - .address_space:  global
        .offset:         48
        .size:           8
        .value_kind:     global_buffer
      - .address_space:  global
        .offset:         56
        .size:           8
        .value_kind:     global_buffer
      - .address_space:  global
        .offset:         64
        .size:           8
        .value_kind:     global_buffer
      - .offset:         72
        .size:           8
        .value_kind:     by_value
      - .address_space:  global
        .offset:         80
        .size:           8
        .value_kind:     global_buffer
      - .offset:         88
        .size:           8
        .value_kind:     by_value
      - .address_space:  global
        .offset:         96
        .size:           8
        .value_kind:     global_buffer
      - .offset:         104
        .size:           8
        .value_kind:     by_value
      - .offset:         112
        .size:           4
        .value_kind:     by_value
      - .offset:         120
        .size:           4
        .value_kind:     hidden_block_count_x
      - .offset:         124
        .size:           4
        .value_kind:     hidden_block_count_y
      - .offset:         128
        .size:           4
        .value_kind:     hidden_block_count_z
      - .offset:         132
        .size:           2
        .value_kind:     hidden_group_size_x
      - .offset:         134
        .size:           2
        .value_kind:     hidden_group_size_y
      - .offset:         136
        .size:           2
        .value_kind:     hidden_group_size_z
      - .offset:         138
        .size:           2
        .value_kind:     hidden_remainder_x
      - .offset:         140
        .size:           2
        .value_kind:     hidden_remainder_y
      - .offset:         142
        .size:           2
        .value_kind:     hidden_remainder_z
      - .offset:         160
        .size:           8
        .value_kind:     hidden_global_offset_x
      - .offset:         168
        .size:           8
        .value_kind:     hidden_global_offset_y
      - .offset:         176
        .size:           8
        .value_kind:     hidden_global_offset_z
      - .offset:         184
        .size:           2
        .value_kind:     hidden_grid_dims
    .group_segment_fixed_size: 0
    .kernarg_segment_align: 8
    .kernarg_segment_size: 376
    .language:       OpenCL C
    .language_version:
      - 2
      - 0
    .max_flat_workgroup_size: 1024
    .name:           _ZN9rocsolver6v33100L18stebz_case1_kernelIdPdEEv15rocblas_erange_T_S4_T0_ilPiS6_PS4_lS6_lS6_li
    .private_segment_fixed_size: 0
    .sgpr_count:     26
    .sgpr_spill_count: 0
    .symbol:         _ZN9rocsolver6v33100L18stebz_case1_kernelIdPdEEv15rocblas_erange_T_S4_T0_ilPiS6_PS4_lS6_lS6_li.kd
    .uniform_work_group_size: 1
    .uses_dynamic_stack: false
    .vgpr_count:     9
    .vgpr_spill_count: 0
    .wavefront_size: 32
  - .args:
      - .offset:         0
        .size:           4
        .value_kind:     by_value
      - .offset:         4
        .size:           4
        .value_kind:     by_value
      - .offset:         8
        .size:           8
        .value_kind:     by_value
      - .offset:         16
        .size:           8
        .value_kind:     by_value
      - .offset:         24
        .size:           4
        .value_kind:     by_value
      - .offset:         28
        .size:           4
        .value_kind:     by_value
      - .address_space:  global
        .offset:         32
        .size:           8
        .value_kind:     global_buffer
      - .offset:         40
        .size:           4
        .value_kind:     by_value
      - .offset:         44
        .size:           4
        .value_kind:     by_value
      - .address_space:  global
        .offset:         48
        .size:           8
        .value_kind:     global_buffer
      - .offset:         56
        .size:           4
        .value_kind:     by_value
      - .offset:         60
        .size:           4
        .value_kind:     by_value
      - .address_space:  global
        .offset:         64
        .size:           8
        .value_kind:     global_buffer
      - .address_space:  global
        .offset:         72
        .size:           8
        .value_kind:     global_buffer
      - .offset:         80
        .size:           8
        .value_kind:     by_value
      - .address_space:  global
        .offset:         88
        .size:           8
        .value_kind:     global_buffer
      - .offset:         96
        .size:           8
        .value_kind:     by_value
      - .address_space:  global
        .offset:         104
        .size:           8
        .value_kind:     global_buffer
      - .address_space:  global
        .offset:         112
        .size:           8
        .value_kind:     global_buffer
      - .address_space:  global
        .offset:         120
        .size:           8
        .value_kind:     global_buffer
      - .address_space:  global
        .offset:         128
        .size:           8
        .value_kind:     global_buffer
      - .address_space:  global
        .offset:         136
        .size:           8
        .value_kind:     global_buffer
      - .address_space:  global
        .offset:         144
        .size:           8
        .value_kind:     global_buffer
      - .offset:         152
        .size:           8
        .value_kind:     by_value
      - .offset:         160
        .size:           8
        .value_kind:     by_value
    .group_segment_fixed_size: 3072
    .kernarg_segment_align: 8
    .kernarg_segment_size: 168
    .language:       OpenCL C
    .language_version:
      - 2
      - 0
    .max_flat_workgroup_size: 256
    .name:           _ZN9rocsolver6v33100L22stebz_splitting_kernelIdPdEEv15rocblas_erange_iT_S4_iiT0_iiS5_iiPiPS4_lS6_lS6_S7_S7_S7_S7_S6_S4_S4_
    .private_segment_fixed_size: 0
    .sgpr_count:     60
    .sgpr_spill_count: 0
    .symbol:         _ZN9rocsolver6v33100L22stebz_splitting_kernelIdPdEEv15rocblas_erange_iT_S4_iiT0_iiS5_iiPiPS4_lS6_lS6_S7_S7_S7_S7_S6_S4_S4_.kd
    .uniform_work_group_size: 1
    .uses_dynamic_stack: false
    .vgpr_count:     34
    .vgpr_spill_count: 0
    .wavefront_size: 32
  - .args:
      - .offset:         0
        .size:           4
        .value_kind:     by_value
      - .offset:         4
        .size:           4
        .value_kind:     by_value
      - .offset:         8
        .size:           8
        .value_kind:     by_value
      - .address_space:  global
        .offset:         16
        .size:           8
        .value_kind:     global_buffer
      - .offset:         24
        .size:           4
        .value_kind:     by_value
      - .offset:         28
        .size:           4
        .value_kind:     by_value
      - .address_space:  global
        .offset:         32
        .size:           8
        .value_kind:     global_buffer
      - .offset:         40
        .size:           4
        .value_kind:     by_value
      - .offset:         44
        .size:           4
        .value_kind:     by_value
      - .address_space:  global
        .offset:         48
        .size:           8
        .value_kind:     global_buffer
      - .address_space:  global
        .offset:         56
        .size:           8
        .value_kind:     global_buffer
      - .offset:         64
        .size:           8
        .value_kind:     by_value
      - .address_space:  global
        .offset:         72
        .size:           8
        .value_kind:     global_buffer
      - .offset:         80
        .size:           8
        .value_kind:     by_value
      - .address_space:  global
        .offset:         88
        .size:           8
        .value_kind:     global_buffer
      - .offset:         96
        .size:           8
        .value_kind:     by_value
      - .address_space:  global
        .offset:         104
        .size:           8
        .value_kind:     global_buffer
      - .address_space:  global
        .offset:         112
        .size:           8
        .value_kind:     global_buffer
      - .address_space:  global
        .offset:         120
        .size:           8
        .value_kind:     global_buffer
      - .address_space:  global
        .offset:         128
        .size:           8
        .value_kind:     global_buffer
      - .address_space:  global
        .offset:         136
        .size:           8
        .value_kind:     global_buffer
      - .address_space:  global
        .offset:         144
        .size:           8
        .value_kind:     global_buffer
      - .address_space:  global
        .offset:         152
        .size:           8
        .value_kind:     global_buffer
      - .offset:         160
        .size:           8
        .value_kind:     by_value
      - .offset:         168
        .size:           8
        .value_kind:     by_value
    .group_segment_fixed_size: 6664
    .kernarg_segment_align: 8
    .kernarg_segment_size: 176
    .language:       OpenCL C
    .language_version:
      - 2
      - 0
    .max_flat_workgroup_size: 128
    .name:           _ZN9rocsolver6v33100L22stebz_bisection_kernelIdPdEEv15rocblas_erange_iT_T0_iiS5_iiPiPS4_lS6_lS6_lS6_S6_S7_S7_S7_S7_S6_S4_S4_
    .private_segment_fixed_size: 0
    .sgpr_count:     80
    .sgpr_spill_count: 0
    .symbol:         _ZN9rocsolver6v33100L22stebz_bisection_kernelIdPdEEv15rocblas_erange_iT_T0_iiS5_iiPiPS4_lS6_lS6_lS6_S6_S7_S7_S7_S7_S6_S4_S4_.kd
    .uniform_work_group_size: 1
    .uses_dynamic_stack: false
    .vgpr_count:     42
    .vgpr_spill_count: 0
    .wavefront_size: 32
  - .args:
      - .offset:         0
        .size:           4
        .value_kind:     by_value
      - .offset:         4
        .size:           4
        .value_kind:     by_value
      - .offset:         8
        .size:           4
        .value_kind:     by_value
      - .offset:         12
        .size:           4
        .value_kind:     by_value
      - .offset:         16
        .size:           4
        .value_kind:     by_value
      - .address_space:  global
        .offset:         24
        .size:           8
        .value_kind:     global_buffer
      - .offset:         32
        .size:           4
        .value_kind:     by_value
      - .offset:         36
        .size:           4
        .value_kind:     by_value
      - .address_space:  global
        .offset:         40
        .size:           8
        .value_kind:     global_buffer
      - .address_space:  global
        .offset:         48
        .size:           8
        .value_kind:     global_buffer
      - .address_space:  global
        .offset:         56
        .size:           8
        .value_kind:     global_buffer
      - .offset:         64
        .size:           8
        .value_kind:     by_value
      - .address_space:  global
        .offset:         72
        .size:           8
        .value_kind:     global_buffer
      - .offset:         80
        .size:           8
        .value_kind:     by_value
      - .address_space:  global
        .offset:         88
        .size:           8
        .value_kind:     global_buffer
      - .offset:         96
        .size:           8
        .value_kind:     by_value
      - .offset:         104
        .size:           4
        .value_kind:     by_value
      - .address_space:  global
        .offset:         112
        .size:           8
        .value_kind:     global_buffer
      - .address_space:  global
        .offset:         120
        .size:           8
        .value_kind:     global_buffer
      - .address_space:  global
        .offset:         128
        .size:           8
        .value_kind:     global_buffer
      - .address_space:  global
        .offset:         136
        .size:           8
        .value_kind:     global_buffer
      - .address_space:  global
        .offset:         144
        .size:           8
        .value_kind:     global_buffer
      - .address_space:  global
        .offset:         152
        .size:           8
        .value_kind:     global_buffer
      - .offset:         160
        .size:           8
        .value_kind:     by_value
      - .offset:         168
        .size:           4
        .value_kind:     hidden_block_count_x
      - .offset:         172
        .size:           4
        .value_kind:     hidden_block_count_y
      - .offset:         176
        .size:           4
        .value_kind:     hidden_block_count_z
      - .offset:         180
        .size:           2
        .value_kind:     hidden_group_size_x
      - .offset:         182
        .size:           2
        .value_kind:     hidden_group_size_y
      - .offset:         184
        .size:           2
        .value_kind:     hidden_group_size_z
      - .offset:         186
        .size:           2
        .value_kind:     hidden_remainder_x
      - .offset:         188
        .size:           2
        .value_kind:     hidden_remainder_y
      - .offset:         190
        .size:           2
        .value_kind:     hidden_remainder_z
      - .offset:         208
        .size:           8
        .value_kind:     hidden_global_offset_x
      - .offset:         216
        .size:           8
        .value_kind:     hidden_global_offset_y
      - .offset:         224
        .size:           8
        .value_kind:     hidden_global_offset_z
      - .offset:         232
        .size:           2
        .value_kind:     hidden_grid_dims
    .group_segment_fixed_size: 0
    .kernarg_segment_align: 8
    .kernarg_segment_size: 424
    .language:       OpenCL C
    .language_version:
      - 2
      - 0
    .max_flat_workgroup_size: 1024
    .name:           _ZN9rocsolver6v33100L22stebz_synthesis_kernelIdPdEEv15rocblas_erange_15rocblas_eorder_iiiT0_iiPiS6_PT_lS6_lS6_liS6_S8_S8_S8_S8_S6_S7_
    .private_segment_fixed_size: 0
    .sgpr_count:     34
    .sgpr_spill_count: 0
    .symbol:         _ZN9rocsolver6v33100L22stebz_synthesis_kernelIdPdEEv15rocblas_erange_15rocblas_eorder_iiiT0_iiPiS6_PT_lS6_lS6_liS6_S8_S8_S8_S8_S6_S7_.kd
    .uniform_work_group_size: 1
    .uses_dynamic_stack: false
    .vgpr_count:     50
    .vgpr_spill_count: 0
    .wavefront_size: 32
amdhsa.target:   amdgcn-amd-amdhsa--gfx1250
amdhsa.version:
  - 1
  - 2
...

	.end_amdgpu_metadata
